;; amdgpu-corpus repo=ROCm/rocFFT kind=compiled arch=gfx1030 opt=O3
	.text
	.amdgcn_target "amdgcn-amd-amdhsa--gfx1030"
	.amdhsa_code_object_version 6
	.protected	bluestein_single_fwd_len650_dim1_half_op_CI_CI ; -- Begin function bluestein_single_fwd_len650_dim1_half_op_CI_CI
	.globl	bluestein_single_fwd_len650_dim1_half_op_CI_CI
	.p2align	8
	.type	bluestein_single_fwd_len650_dim1_half_op_CI_CI,@function
bluestein_single_fwd_len650_dim1_half_op_CI_CI: ; @bluestein_single_fwd_len650_dim1_half_op_CI_CI
; %bb.0:
	s_load_dwordx4 s[12:15], s[4:5], 0x28
	v_mul_u32_u24_e32 v1, 0x3f1, v0
	s_mov_b32 s0, exec_lo
	v_lshrrev_b32_e32 v1, 16, v1
	v_mad_u64_u32 v[20:21], null, s6, 3, v[1:2]
	v_mov_b32_e32 v21, 0
	s_waitcnt lgkmcnt(0)
	v_cmpx_gt_u64_e64 s[12:13], v[20:21]
	s_cbranch_execz .LBB0_10
; %bb.1:
	s_clause 0x1
	s_load_dwordx4 s[8:11], s[4:5], 0x18
	s_load_dwordx4 s[0:3], s[4:5], 0x0
	v_mul_lo_u16 v1, 0x41, v1
	s_load_dwordx2 s[4:5], s[4:5], 0x38
                                        ; implicit-def: $vgpr85
	v_sub_nc_u16 v8, v0, v1
	v_and_b32_e32 v45, 0xffff, v8
	v_add_nc_u16 v15, v8, 0x41
	s_waitcnt lgkmcnt(0)
	s_load_dwordx4 s[16:19], s[8:9], 0x0
	s_waitcnt lgkmcnt(0)
	v_mad_u64_u32 v[0:1], null, s18, v20, 0
	v_mad_u64_u32 v[2:3], null, s16, v45, 0
	s_mul_i32 s6, s17, 0x104
	s_mul_hi_u32 s7, s16, 0x104
	s_mul_i32 s8, s16, 0x104
	s_add_i32 s7, s7, s6
	v_mad_u64_u32 v[4:5], null, s19, v20, v[1:2]
	v_mad_u64_u32 v[5:6], null, s17, v45, v[3:4]
	v_mov_b32_e32 v1, v4
	v_mov_b32_e32 v3, v5
	v_lshlrev_b64 v[4:5], 2, v[0:1]
	v_lshlrev_b32_e32 v0, 2, v45
	v_lshlrev_b64 v[1:2], 2, v[2:3]
	v_add_co_u32 v3, vcc_lo, s14, v4
	v_add_co_ci_u32_e32 v4, vcc_lo, s15, v5, vcc_lo
	v_add_co_u32 v50, s6, s0, v0
	v_add_co_u32 v1, vcc_lo, v3, v1
	v_add_co_ci_u32_e32 v2, vcc_lo, v4, v2, vcc_lo
	v_add_co_ci_u32_e64 v51, null, s1, 0, s6
	v_add_co_u32 v3, vcc_lo, v1, s8
	v_add_co_ci_u32_e32 v4, vcc_lo, s7, v2, vcc_lo
	s_clause 0x1
	global_load_dword v2, v[1:2], off
	global_load_dword v1, v[3:4], off
	v_add_co_u32 v3, vcc_lo, v3, s8
	v_add_co_ci_u32_e32 v4, vcc_lo, s7, v4, vcc_lo
	s_clause 0x7
	global_load_dword v48, v0, s[0:1]
	global_load_dword v47, v0, s[0:1] offset:260
	global_load_dword v46, v0, s[0:1] offset:520
	;; [unrolled: 1-line block ×7, first 2 shown]
	v_add_co_u32 v5, vcc_lo, v3, s8
	v_add_co_ci_u32_e32 v6, vcc_lo, s7, v4, vcc_lo
	s_clause 0x1
	global_load_dword v7, v[3:4], off
	global_load_dword v10, v[5:6], off
	v_add_co_u32 v3, vcc_lo, v5, s8
	v_add_co_ci_u32_e32 v4, vcc_lo, s7, v6, vcc_lo
	v_add_co_u32 v5, vcc_lo, v3, s8
	v_add_co_ci_u32_e32 v6, vcc_lo, s7, v4, vcc_lo
	global_load_dword v11, v[3:4], off
	v_add_co_u32 v3, vcc_lo, v5, s8
	v_add_co_ci_u32_e32 v4, vcc_lo, s7, v6, vcc_lo
	global_load_dword v12, v[5:6], off
	v_add_co_u32 v5, vcc_lo, v3, s8
	v_add_co_ci_u32_e32 v6, vcc_lo, s7, v4, vcc_lo
	global_load_dword v13, v[3:4], off
	v_add_co_u32 v3, vcc_lo, v5, s8
	v_add_co_ci_u32_e32 v4, vcc_lo, s7, v6, vcc_lo
	global_load_dword v14, v[5:6], off
	v_add_co_u32 v5, vcc_lo, v3, s8
	v_add_co_ci_u32_e32 v6, vcc_lo, s7, v4, vcc_lo
	v_add_co_u32 v21, vcc_lo, 0x800, v50
	v_add_co_ci_u32_e32 v22, vcc_lo, 0, v51, vcc_lo
	global_load_dword v3, v[3:4], off
	global_load_dword v4, v[5:6], off
	s_clause 0x1
	global_load_dword v38, v[21:22], off offset:32
	global_load_dword v37, v[21:22], off offset:292
	v_mul_hi_u32 v5, 0xaaaaaaab, v20
	v_and_b32_e32 v6, 0xff, v15
	s_load_dwordx4 s[8:11], s[10:11], 0x0
	v_cmp_gt_u16_e32 vcc_lo, 50, v8
	v_mul_lo_u16 v17, 0xcd, v6
	v_lshrrev_b32_e32 v5, 1, v5
	v_lshl_add_u32 v5, v5, 1, v5
	v_sub_nc_u32_e32 v5, v20, v5
	v_mul_u32_u24_e32 v5, 0x28a, v5
	v_lshlrev_b32_e32 v49, 2, v5
	v_and_b32_e32 v5, 0xff, v8
	v_add_nc_u32_e32 v42, v0, v49
	v_mul_lo_u16 v16, 0xcd, v5
	v_add_nc_u32_e32 v9, 0x400, v42
	v_add_nc_u32_e32 v19, 0x800, v42
	s_waitcnt vmcnt(19)
	v_lshrrev_b32_e32 v0, 16, v2
	s_waitcnt vmcnt(17)
	v_mul_f16_sdwa v5, v48, v2 dst_sel:DWORD dst_unused:UNUSED_PAD src0_sel:WORD_1 src1_sel:DWORD
	v_lshrrev_b32_e32 v18, 16, v1
	s_waitcnt vmcnt(16)
	v_mul_f16_sdwa v23, v47, v1 dst_sel:DWORD dst_unused:UNUSED_PAD src0_sel:WORD_1 src1_sel:DWORD
	v_mul_f16_sdwa v6, v48, v0 dst_sel:DWORD dst_unused:UNUSED_PAD src0_sel:WORD_1 src1_sel:DWORD
	v_fma_f16 v0, v48, v0, -v5
	v_fmac_f16_e32 v6, v48, v2
	v_mul_f16_sdwa v2, v47, v18 dst_sel:DWORD dst_unused:UNUSED_PAD src0_sel:WORD_1 src1_sel:DWORD
	s_waitcnt vmcnt(9)
	v_lshrrev_b32_e32 v5, 16, v7
	v_fma_f16 v18, v47, v18, -v23
	v_mul_f16_sdwa v23, v46, v7 dst_sel:DWORD dst_unused:UNUSED_PAD src0_sel:WORD_1 src1_sel:DWORD
	v_pack_b32_f16 v0, v6, v0
	v_fmac_f16_e32 v2, v47, v1
	v_mul_f16_sdwa v1, v46, v5 dst_sel:DWORD dst_unused:UNUSED_PAD src0_sel:WORD_1 src1_sel:DWORD
	s_waitcnt vmcnt(8)
	v_lshrrev_b32_e32 v6, 16, v10
	v_fma_f16 v5, v46, v5, -v23
	v_mul_f16_sdwa v23, v44, v10 dst_sel:DWORD dst_unused:UNUSED_PAD src0_sel:WORD_1 src1_sel:DWORD
	v_pack_b32_f16 v2, v2, v18
	v_fmac_f16_e32 v1, v46, v7
	v_mul_f16_sdwa v7, v44, v6 dst_sel:DWORD dst_unused:UNUSED_PAD src0_sel:WORD_1 src1_sel:DWORD
	s_waitcnt vmcnt(7)
	v_lshrrev_b32_e32 v18, 16, v11
	v_mul_f16_sdwa v24, v43, v11 dst_sel:DWORD dst_unused:UNUSED_PAD src0_sel:WORD_1 src1_sel:DWORD
	v_fma_f16 v6, v44, v6, -v23
	v_pack_b32_f16 v1, v1, v5
	v_fmac_f16_e32 v7, v44, v10
	v_mul_f16_sdwa v5, v43, v18 dst_sel:DWORD dst_unused:UNUSED_PAD src0_sel:WORD_1 src1_sel:DWORD
	v_fma_f16 v10, v43, v18, -v24
	s_waitcnt vmcnt(6)
	v_lshrrev_b32_e32 v18, 16, v12
	v_mul_f16_sdwa v23, v41, v12 dst_sel:DWORD dst_unused:UNUSED_PAD src0_sel:WORD_1 src1_sel:DWORD
	v_pack_b32_f16 v6, v7, v6
	v_fmac_f16_e32 v5, v43, v11
	s_waitcnt vmcnt(5)
	v_lshrrev_b32_e32 v7, 16, v13
	v_mul_f16_sdwa v11, v41, v18 dst_sel:DWORD dst_unused:UNUSED_PAD src0_sel:WORD_1 src1_sel:DWORD
	v_fma_f16 v18, v41, v18, -v23
	v_mul_f16_sdwa v23, v40, v13 dst_sel:DWORD dst_unused:UNUSED_PAD src0_sel:WORD_1 src1_sel:DWORD
	v_pack_b32_f16 v5, v5, v10
	v_mul_f16_sdwa v10, v40, v7 dst_sel:DWORD dst_unused:UNUSED_PAD src0_sel:WORD_1 src1_sel:DWORD
	v_fmac_f16_e32 v11, v41, v12
	s_waitcnt vmcnt(4)
	v_lshrrev_b32_e32 v12, 16, v14
	v_fma_f16 v7, v40, v7, -v23
	v_mul_f16_sdwa v23, v39, v14 dst_sel:DWORD dst_unused:UNUSED_PAD src0_sel:WORD_1 src1_sel:DWORD
	v_fmac_f16_e32 v10, v40, v13
	s_waitcnt vmcnt(3)
	v_lshrrev_b32_e32 v13, 16, v3
	s_waitcnt vmcnt(2)
	v_lshrrev_b32_e32 v25, 16, v4
	v_mul_f16_sdwa v24, v39, v12 dst_sel:DWORD dst_unused:UNUSED_PAD src0_sel:WORD_1 src1_sel:DWORD
	v_fma_f16 v12, v39, v12, -v23
	s_waitcnt vmcnt(1)
	v_mul_f16_sdwa v23, v38, v3 dst_sel:DWORD dst_unused:UNUSED_PAD src0_sel:WORD_1 src1_sel:DWORD
	v_mul_f16_sdwa v26, v38, v13 dst_sel:DWORD dst_unused:UNUSED_PAD src0_sel:WORD_1 src1_sel:DWORD
	s_waitcnt vmcnt(0)
	v_mul_f16_sdwa v27, v37, v4 dst_sel:DWORD dst_unused:UNUSED_PAD src0_sel:WORD_1 src1_sel:DWORD
	v_mul_f16_sdwa v28, v37, v25 dst_sel:DWORD dst_unused:UNUSED_PAD src0_sel:WORD_1 src1_sel:DWORD
	v_fmac_f16_e32 v24, v39, v14
	v_fma_f16 v13, v38, v13, -v23
	v_fmac_f16_e32 v26, v38, v3
	v_fma_f16 v3, v37, v25, -v27
	v_fmac_f16_e32 v28, v37, v4
	v_pack_b32_f16 v4, v11, v18
	v_pack_b32_f16 v7, v10, v7
	;; [unrolled: 1-line block ×5, first 2 shown]
	ds_write2_b32 v42, v0, v2 offset1:65
	ds_write2_b32 v42, v1, v6 offset0:130 offset1:195
	ds_write2_b32 v9, v5, v4 offset0:4 offset1:69
	;; [unrolled: 1-line block ×4, first 2 shown]
	s_waitcnt lgkmcnt(0)
	s_barrier
	buffer_gl0_inv
	ds_read2_b32 v[0:1], v42 offset0:130 offset1:195
	ds_read2_b32 v[2:3], v9 offset0:4 offset1:69
	;; [unrolled: 1-line block ×4, first 2 shown]
	ds_read2_b32 v[10:11], v42 offset1:65
	v_lshrrev_b16 v18, 11, v16
	v_lshrrev_b16 v23, 11, v17
	v_mul_lo_u16 v12, v8, 10
	v_mov_b32_e32 v14, 4
	s_waitcnt lgkmcnt(0)
	v_mul_lo_u16 v13, v18, 10
	v_mul_lo_u16 v16, v23, 10
	v_and_b32_e32 v12, 0xffff, v12
	s_barrier
	buffer_gl0_inv
	v_sub_nc_u16 v25, v8, v13
	v_sub_nc_u16 v26, v15, v16
	v_lshl_add_u32 v52, v12, 2, v49
	v_lshlrev_b32_sdwa v12, v14, v25 dst_sel:DWORD dst_unused:UNUSED_PAD src0_sel:DWORD src1_sel:BYTE_0
	v_sub_f16_e32 v55, v1, v3
	v_add_f16_e32 v13, v2, v4
	v_add_f16_e32 v27, v0, v6
	;; [unrolled: 1-line block ×3, first 2 shown]
	v_sub_f16_sdwa v53, v1, v7 dst_sel:DWORD dst_unused:UNUSED_PAD src0_sel:WORD_1 src1_sel:WORD_1
	v_add_f16_e32 v56, v1, v7
	v_sub_f16_e32 v57, v3, v1
	v_pk_add_f16 v58, v11, v1
	v_add_f16_sdwa v59, v3, v5 dst_sel:DWORD dst_unused:UNUSED_PAD src0_sel:WORD_1 src1_sel:WORD_1
	v_lshrrev_b32_e32 v60, 16, v11
	v_sub_f16_sdwa v62, v1, v3 dst_sel:DWORD dst_unused:UNUSED_PAD src0_sel:WORD_1 src1_sel:WORD_1
	v_sub_f16_sdwa v63, v3, v1 dst_sel:DWORD dst_unused:UNUSED_PAD src0_sel:WORD_1 src1_sel:WORD_1
	v_sub_f16_e32 v64, v1, v7
	v_add_f16_sdwa v1, v1, v7 dst_sel:DWORD dst_unused:UNUSED_PAD src0_sel:WORD_1 src1_sel:WORD_1
	v_sub_f16_e32 v17, v6, v4
	v_sub_f16_e32 v24, v0, v2
	;; [unrolled: 1-line block ×3, first 2 shown]
	v_pk_add_f16 v29, v10, v0
	v_add_f16_sdwa v30, v2, v4 dst_sel:DWORD dst_unused:UNUSED_PAD src0_sel:WORD_1 src1_sel:WORD_1
	v_lshrrev_b32_e32 v31, 16, v10
	v_sub_f16_sdwa v34, v0, v2 dst_sel:DWORD dst_unused:UNUSED_PAD src0_sel:WORD_1 src1_sel:WORD_1
	v_add_f16_sdwa v35, v0, v6 dst_sel:DWORD dst_unused:UNUSED_PAD src0_sel:WORD_1 src1_sel:WORD_1
	v_sub_f16_sdwa v54, v3, v5 dst_sel:DWORD dst_unused:UNUSED_PAD src0_sel:WORD_1 src1_sel:WORD_1
	v_sub_f16_e32 v61, v3, v5
	v_sub_f16_e32 v65, v4, v6
	v_sub_f16_sdwa v66, v6, v4 dst_sel:DWORD dst_unused:UNUSED_PAD src0_sel:WORD_1 src1_sel:WORD_1
	v_sub_f16_e32 v69, v5, v7
	v_sub_f16_sdwa v70, v7, v5 dst_sel:DWORD dst_unused:UNUSED_PAD src0_sel:WORD_1 src1_sel:WORD_1
	v_fma_f16 v13, -0.5, v13, v10
	v_fma_f16 v10, -0.5, v27, v10
	;; [unrolled: 1-line block ×5, first 2 shown]
	v_fmac_f16_e32 v60, -0.5, v1
	v_sub_f16_sdwa v15, v0, v6 dst_sel:DWORD dst_unused:UNUSED_PAD src0_sel:WORD_1 src1_sel:WORD_1
	v_sub_f16_sdwa v16, v2, v4 dst_sel:DWORD dst_unused:UNUSED_PAD src0_sel:WORD_1 src1_sel:WORD_1
	v_sub_f16_e32 v32, v0, v6
	v_sub_f16_e32 v33, v2, v4
	v_sub_f16_sdwa v0, v2, v0 dst_sel:DWORD dst_unused:UNUSED_PAD src0_sel:WORD_1 src1_sel:WORD_1
	v_sub_f16_e32 v68, v7, v5
	v_sub_f16_sdwa v71, v5, v7 dst_sel:DWORD dst_unused:UNUSED_PAD src0_sel:WORD_1 src1_sel:WORD_1
	v_pk_add_f16 v2, v29, v2
	v_pk_add_f16 v3, v58, v3
	v_add_f16_e32 v17, v24, v17
	v_add_f16_e32 v24, v28, v65
	;; [unrolled: 1-line block ×3, first 2 shown]
	v_fma_f16 v29, -0.5, v30, v31
	v_fmac_f16_e32 v31, -0.5, v35
	v_add_f16_e32 v34, v57, v69
	v_add_f16_e32 v35, v62, v70
	v_fmamk_f16 v57, v53, 0x3b9c, v27
	v_fmamk_f16 v58, v54, 0xbb9c, v11
	v_fmac_f16_e32 v11, 0x3b9c, v54
	v_fmamk_f16 v62, v61, 0x3b9c, v60
	v_fmac_f16_e32 v60, 0xbb9c, v61
	v_fmac_f16_e32 v27, 0xbb9c, v53
	v_fmamk_f16 v59, v64, 0xbb9c, v36
	v_fmac_f16_e32 v36, 0x3b9c, v64
	v_sub_f16_sdwa v67, v4, v6 dst_sel:DWORD dst_unused:UNUSED_PAD src0_sel:WORD_1 src1_sel:WORD_1
	v_add_f16_e32 v30, v55, v68
	v_add_f16_e32 v1, v63, v71
	v_fmamk_f16 v55, v15, 0x3b9c, v13
	v_fmac_f16_e32 v13, 0xbb9c, v15
	v_pk_add_f16 v2, v2, v4
	v_pk_add_f16 v3, v3, v5
	v_fmamk_f16 v56, v33, 0x3b9c, v31
	v_fmac_f16_e32 v31, 0xbb9c, v33
	v_fmac_f16_e32 v57, 0x38b4, v54
	;; [unrolled: 1-line block ×6, first 2 shown]
	v_fmamk_f16 v4, v16, 0xbb9c, v10
	v_fmac_f16_e32 v10, 0x3b9c, v16
	v_fmac_f16_e32 v27, 0xb8b4, v54
	;; [unrolled: 1-line block ×3, first 2 shown]
	v_add_f16_e32 v0, v0, v67
	v_fmamk_f16 v5, v32, 0xbb9c, v29
	v_fmac_f16_e32 v55, 0x38b4, v16
	v_fmac_f16_e32 v13, 0xb8b4, v16
	;; [unrolled: 1-line block ×4, first 2 shown]
	v_pk_add_f16 v2, v2, v6
	v_pk_add_f16 v3, v3, v7
	v_fmac_f16_e32 v59, 0xb8b4, v61
	v_fmac_f16_e32 v57, 0x34f2, v30
	;; [unrolled: 1-line block ×17, first 2 shown]
	v_pk_add_f16 v0, v2, v3
	v_pk_add_f16 v3, v2, v3 neg_lo:[0,1] neg_hi:[0,1]
	v_mul_f16_e32 v1, 0x3a79, v57
	v_mul_f16_e32 v2, 0x3b9c, v62
	;; [unrolled: 1-line block ×6, first 2 shown]
	v_fmac_f16_e32 v29, 0x38b4, v33
	v_fmac_f16_e32 v4, 0x34f2, v24
	;; [unrolled: 1-line block ×3, first 2 shown]
	v_mul_f16_e32 v7, 0x3a79, v27
	v_mul_f16_e32 v24, 0x3a79, v36
	v_fmac_f16_e32 v5, 0x34f2, v28
	v_fmac_f16_e32 v1, 0x38b4, v59
	;; [unrolled: 1-line block ×3, first 2 shown]
	v_fma_f16 v6, v60, 0x3b9c, -v6
	v_fmac_f16_e32 v15, 0x3a79, v59
	v_fmac_f16_e32 v16, 0x34f2, v62
	v_fma_f16 v11, v11, 0xbb9c, -v17
	v_fmac_f16_e32 v29, 0x34f2, v28
	v_fma_f16 v7, v36, 0x38b4, -v7
	v_fma_f16 v17, v27, 0xb8b4, -v24
	v_add_f16_e32 v24, v55, v1
	v_add_f16_e32 v27, v4, v2
	;; [unrolled: 1-line block ×8, first 2 shown]
	v_sub_f16_e32 v36, v55, v1
	v_sub_f16_e32 v2, v4, v2
	;; [unrolled: 1-line block ×8, first 2 shown]
	v_pack_b32_f16 v1, v24, v32
	v_pack_b32_f16 v5, v28, v34
	;; [unrolled: 1-line block ×8, first 2 shown]
	ds_write2_b64 v52, v[0:1], v[4:5] offset1:1
	ds_write2_b64 v52, v[2:3], v[6:7] offset0:2 offset1:3
	ds_write_b64 v52, v[10:11] offset:32
	v_lshlrev_b32_sdwa v0, v14, v26 dst_sel:DWORD dst_unused:UNUSED_PAD src0_sel:DWORD src1_sel:BYTE_0
	s_waitcnt lgkmcnt(0)
	s_barrier
	buffer_gl0_inv
	s_clause 0x1
	global_load_dwordx4 v[4:7], v12, s[2:3]
	global_load_dwordx4 v[0:3], v0, s[2:3]
	ds_read2_b32 v[10:11], v42 offset0:130 offset1:195
	ds_read2_b32 v[12:13], v9 offset0:4 offset1:69
	;; [unrolled: 1-line block ×4, first 2 shown]
	v_mov_b32_e32 v24, 50
	v_mul_u32_u24_sdwa v18, v18, v24 dst_sel:DWORD dst_unused:UNUSED_PAD src0_sel:WORD_0 src1_sel:DWORD
	v_mul_u32_u24_sdwa v19, v23, v24 dst_sel:DWORD dst_unused:UNUSED_PAD src0_sel:WORD_0 src1_sel:DWORD
	ds_read2_b32 v[23:24], v42 offset1:65
	s_waitcnt vmcnt(0) lgkmcnt(0)
	s_barrier
	v_add_nc_u32_sdwa v18, v18, v25 dst_sel:DWORD dst_unused:UNUSED_PAD src0_sel:DWORD src1_sel:BYTE_0
	v_add_nc_u32_sdwa v19, v19, v26 dst_sel:DWORD dst_unused:UNUSED_PAD src0_sel:DWORD src1_sel:BYTE_0
	buffer_gl0_inv
	v_lshl_add_u32 v54, v18, 2, v49
	v_lshl_add_u32 v53, v19, 2, v49
	v_lshrrev_b32_e32 v8, 16, v10
	v_lshrrev_b32_e32 v18, 16, v12
	;; [unrolled: 1-line block ×10, first 2 shown]
	v_mul_f16_sdwa v30, v8, v4 dst_sel:DWORD dst_unused:UNUSED_PAD src0_sel:DWORD src1_sel:WORD_1
	v_mul_f16_sdwa v31, v10, v4 dst_sel:DWORD dst_unused:UNUSED_PAD src0_sel:DWORD src1_sel:WORD_1
	;; [unrolled: 1-line block ×16, first 2 shown]
	v_fma_f16 v10, v10, v4, -v30
	v_fma_f16 v11, v11, v0, -v36
	v_fmac_f16_e32 v31, v8, v4
	v_fmac_f16_e32 v33, v18, v5
	;; [unrolled: 1-line block ×3, first 2 shown]
	v_fma_f16 v8, v12, v5, -v32
	v_fma_f16 v12, v14, v6, -v34
	;; [unrolled: 1-line block ×3, first 2 shown]
	v_fmac_f16_e32 v57, v26, v0
	v_fmac_f16_e32 v56, v25, v7
	v_fma_f16 v13, v13, v1, -v58
	v_fma_f16 v15, v15, v2, -v60
	;; [unrolled: 1-line block ×3, first 2 shown]
	v_fmac_f16_e32 v59, v27, v1
	v_fmac_f16_e32 v61, v28, v2
	;; [unrolled: 1-line block ×3, first 2 shown]
	v_add_f16_e32 v17, v24, v11
	v_add_f16_e32 v18, v8, v12
	v_sub_f16_e32 v26, v8, v10
	v_sub_f16_e32 v32, v12, v14
	v_add_f16_e32 v64, v33, v35
	v_add_f16_e32 v76, v67, v57
	v_sub_f16_e32 v19, v10, v8
	v_sub_f16_e32 v25, v14, v12
	;; [unrolled: 1-line block ×6, first 2 shown]
	v_add_f16_e32 v65, v31, v56
	v_add_f16_e32 v81, v10, v14
	;; [unrolled: 1-line block ×6, first 2 shown]
	v_sub_f16_e32 v36, v13, v11
	v_sub_f16_e32 v58, v13, v15
	v_add_f16_e32 v66, v69, v31
	v_sub_f16_e32 v68, v33, v31
	v_add_f16_e32 v79, v23, v10
	v_sub_f16_e32 v31, v31, v56
	v_sub_f16_e32 v10, v10, v14
	v_add_f16_e32 v13, v17, v13
	v_fma_f16 v27, -0.5, v18, v23
	v_add_f16_e32 v18, v26, v32
	v_fma_f16 v70, -0.5, v64, v69
	v_add_f16_e32 v26, v76, v59
	v_sub_f16_e32 v71, v35, v56
	v_sub_f16_e32 v82, v8, v12
	;; [unrolled: 1-line block ×3, first 2 shown]
	v_add_f16_e32 v17, v19, v25
	v_add_f16_e32 v19, v60, v62
	v_fmac_f16_e32 v69, -0.5, v65
	v_add_f16_e32 v62, v29, v30
	v_fma_f16 v30, -0.5, v81, v23
	v_sub_f16_e32 v11, v11, v16
	v_sub_f16_e32 v72, v57, v59
	v_sub_f16_e32 v73, v63, v61
	v_sub_f16_e32 v77, v59, v57
	v_sub_f16_e32 v57, v57, v63
	v_fma_f16 v32, -0.5, v28, v24
	v_fma_f16 v80, -0.5, v74, v67
	v_sub_f16_e32 v84, v59, v61
	v_fmac_f16_e32 v24, -0.5, v34
	v_fmac_f16_e32 v67, -0.5, v75
	v_sub_f16_e32 v55, v15, v16
	v_add_f16_e32 v8, v79, v8
	v_add_f16_e32 v25, v66, v33
	;; [unrolled: 1-line block ×4, first 2 shown]
	v_fmamk_f16 v26, v31, 0x3b9c, v27
	v_fmamk_f16 v23, v10, 0xbb9c, v70
	v_add_f16_e32 v60, v68, v71
	v_fmamk_f16 v29, v83, 0xbb9c, v30
	v_fmac_f16_e32 v30, 0x3b9c, v83
	v_fmamk_f16 v71, v82, 0x3b9c, v69
	v_fmac_f16_e32 v69, 0xbb9c, v82
	v_fmac_f16_e32 v27, 0xbb9c, v31
	;; [unrolled: 1-line block ×3, first 2 shown]
	v_add_f16_e32 v64, v72, v73
	v_fmamk_f16 v33, v57, 0x3b9c, v32
	v_fmamk_f16 v72, v11, 0xbb9c, v80
	v_sub_f16_e32 v78, v61, v63
	v_fmamk_f16 v34, v84, 0xbb9c, v24
	v_fmac_f16_e32 v24, 0x3b9c, v84
	v_fmamk_f16 v81, v58, 0x3b9c, v67
	v_fmac_f16_e32 v67, 0xbb9c, v58
	v_add_f16_e32 v8, v8, v12
	v_add_f16_e32 v12, v25, v35
	v_fmac_f16_e32 v32, 0xbb9c, v57
	v_fmac_f16_e32 v80, 0x3b9c, v11
	;; [unrolled: 1-line block ×12, first 2 shown]
	v_add_f16_e32 v36, v36, v55
	v_add_f16_e32 v65, v77, v78
	v_fmac_f16_e32 v34, 0x38b4, v57
	v_fmac_f16_e32 v24, 0xb8b4, v57
	;; [unrolled: 1-line block ×4, first 2 shown]
	v_add_f16_e32 v25, v8, v14
	v_add_f16_e32 v55, v12, v56
	v_fmac_f16_e32 v32, 0xb8b4, v84
	v_fmac_f16_e32 v80, 0x38b4, v58
	;; [unrolled: 1-line block ×10, first 2 shown]
	v_add_f16_e32 v28, v13, v16
	v_add_f16_e32 v73, v15, v63
	v_fmac_f16_e32 v33, 0x34f2, v62
	v_fmac_f16_e32 v72, 0x34f2, v64
	;; [unrolled: 1-line block ×8, first 2 shown]
	v_pack_b32_f16 v8, v25, v55
	v_pack_b32_f16 v11, v26, v23
	;; [unrolled: 1-line block ×10, first 2 shown]
	ds_write2_b32 v54, v8, v11 offset1:10
	ds_write2_b32 v54, v12, v13 offset0:20 offset1:30
	ds_write_b32 v54, v14 offset:160
	ds_write2_b32 v53, v10, v15 offset1:10
	ds_write2_b32 v53, v16, v17 offset0:20 offset1:30
	ds_write_b32 v53, v18 offset:160
	s_waitcnt lgkmcnt(0)
	s_barrier
	buffer_gl0_inv
                                        ; implicit-def: $vgpr35
                                        ; implicit-def: $vgpr83
                                        ; implicit-def: $vgpr84
                                        ; implicit-def: $vgpr82
	s_and_saveexec_b32 s0, vcc_lo
	s_cbranch_execz .LBB0_3
; %bb.2:
	v_add_nc_u32_e32 v8, 0x600, v42
	ds_read2_b32 v[25:26], v42 offset1:50
	ds_read2_b32 v[29:30], v42 offset0:100 offset1:150
	ds_read2_b32 v[27:28], v42 offset0:200 offset1:250
	ds_read2_b32 v[33:34], v9 offset0:44 offset1:94
	ds_read2_b32 v[31:32], v9 offset0:144 offset1:194
	ds_read_b32 v82, v42 offset:2400
	ds_read2_b32 v[35:36], v8 offset0:116 offset1:166
	s_waitcnt lgkmcnt(6)
	v_lshrrev_b32_e32 v55, 16, v25
	v_lshrrev_b32_e32 v23, 16, v26
	s_waitcnt lgkmcnt(5)
	v_lshrrev_b32_e32 v71, 16, v29
	v_lshrrev_b32_e32 v69, 16, v30
	;; [unrolled: 3-line block ×5, first 2 shown]
	s_waitcnt lgkmcnt(1)
	v_lshrrev_b32_e32 v85, 16, v82
	s_waitcnt lgkmcnt(0)
	v_lshrrev_b32_e32 v83, 16, v35
	v_lshrrev_b32_e32 v84, 16, v36
	v_mov_b32_e32 v24, v31
.LBB0_3:
	s_or_b32 exec_lo, exec_lo, s0
	v_subrev_nc_u32_e32 v8, 50, v45
	v_cndmask_b32_e32 v8, v8, v45, vcc_lo
	v_mul_i32_i24_e32 v9, 48, v8
	v_mul_hi_i32_i24_e32 v8, 48, v8
	v_add_co_u32 v16, s0, s2, v9
	v_add_co_ci_u32_e64 v17, s0, s3, v8, s0
	s_clause 0x2
	global_load_dwordx4 v[12:15], v[16:17], off offset:160
	global_load_dwordx4 v[8:11], v[16:17], off offset:176
	;; [unrolled: 1-line block ×3, first 2 shown]
	s_waitcnt vmcnt(2)
	v_mul_f16_sdwa v31, v23, v12 dst_sel:DWORD dst_unused:UNUSED_PAD src0_sel:DWORD src1_sel:WORD_1
	v_mul_f16_sdwa v68, v26, v12 dst_sel:DWORD dst_unused:UNUSED_PAD src0_sel:DWORD src1_sel:WORD_1
	s_waitcnt vmcnt(1)
	v_mul_f16_sdwa v60, v24, v11 dst_sel:DWORD dst_unused:UNUSED_PAD src0_sel:DWORD src1_sel:WORD_1
	s_waitcnt vmcnt(0)
	v_mul_f16_sdwa v93, v85, v19 dst_sel:DWORD dst_unused:UNUSED_PAD src0_sel:DWORD src1_sel:WORD_1
	v_mul_f16_sdwa v56, v82, v19 dst_sel:DWORD dst_unused:UNUSED_PAD src0_sel:DWORD src1_sel:WORD_1
	;; [unrolled: 1-line block ×9, first 2 shown]
	v_fma_f16 v79, v26, v12, -v31
	v_fmac_f16_e32 v68, v23, v12
	v_fmac_f16_e32 v60, v67, v11
	v_fma_f16 v67, v82, v19, -v93
	v_fmac_f16_e32 v56, v85, v19
	v_mul_f16_sdwa v75, v69, v14 dst_sel:DWORD dst_unused:UNUSED_PAD src0_sel:DWORD src1_sel:WORD_1
	v_mul_f16_sdwa v65, v30, v14 dst_sel:DWORD dst_unused:UNUSED_PAD src0_sel:DWORD src1_sel:WORD_1
	;; [unrolled: 1-line block ×7, first 2 shown]
	v_fma_f16 v78, v29, v13, -v74
	v_fmac_f16_e32 v66, v71, v13
	v_fmac_f16_e32 v64, v70, v15
	v_fma_f16 v74, v33, v9, -v87
	v_fma_f16 v70, v36, v18, -v92
	v_fmac_f16_e32 v59, v84, v18
	v_sub_f16_e32 v87, v79, v67
	v_sub_f16_e32 v85, v68, v56
	v_mul_f16_sdwa v63, v28, v8 dst_sel:DWORD dst_unused:UNUSED_PAD src0_sel:DWORD src1_sel:WORD_1
	v_mul_f16_sdwa v88, v81, v10 dst_sel:DWORD dst_unused:UNUSED_PAD src0_sel:DWORD src1_sel:WORD_1
	;; [unrolled: 1-line block ×4, first 2 shown]
	v_fma_f16 v77, v30, v14, -v75
	v_fmac_f16_e32 v65, v69, v14
	v_fma_f16 v75, v28, v8, -v86
	v_fmac_f16_e32 v62, v72, v9
	v_fma_f16 v72, v24, v11, -v89
	v_fma_f16 v69, v35, v17, -v91
	v_fmac_f16_e32 v58, v83, v17
	v_add_f16_e32 v26, v79, v67
	v_add_f16_e32 v31, v68, v56
	v_sub_f16_e32 v89, v78, v70
	v_sub_f16_e32 v86, v66, v59
	v_mul_f16_e32 v93, 0xb770, v85
	v_mul_f16_e32 v113, 0xba95, v85
	;; [unrolled: 1-line block ×6, first 2 shown]
	v_mul_f16_sdwa v61, v34, v10 dst_sel:DWORD dst_unused:UNUSED_PAD src0_sel:DWORD src1_sel:WORD_1
	v_fma_f16 v76, v27, v15, -v76
	v_fmac_f16_e32 v63, v73, v8
	v_fma_f16 v73, v34, v10, -v88
	v_fma_f16 v71, v32, v16, -v90
	v_fmac_f16_e32 v57, v80, v16
	v_add_f16_e32 v32, v78, v70
	v_sub_f16_e32 v88, v65, v58
	v_add_f16_e32 v80, v66, v59
	v_sub_f16_e32 v127, v77, v69
	v_mul_f16_e32 v90, 0xba95, v86
	v_mul_f16_e32 v111, 0xbb7b, v86
	v_mul_f16_e32 v121, 0xb3a8, v86
	v_mul_f16_e32 v101, 0xba95, v89
	v_mul_f16_e32 v119, 0xbb7b, v89
	v_mul_f16_e32 v131, 0xb3a8, v89
	v_fmamk_f16 v23, v26, 0x388b, v113
	v_fmamk_f16 v24, v26, 0x2fb7, v122
	;; [unrolled: 1-line block ×3, first 2 shown]
	v_fma_f16 v141, v31, 0x3b15, -v105
	v_fma_f16 v143, v31, 0x388b, -v120
	;; [unrolled: 1-line block ×3, first 2 shown]
	v_fmac_f16_e32 v61, v81, v10
	v_add_f16_e32 v33, v77, v69
	v_sub_f16_e32 v91, v64, v57
	v_add_f16_e32 v81, v65, v58
	v_sub_f16_e32 v126, v76, v71
	v_mul_f16_e32 v109, 0xb3a8, v88
	v_mul_f16_e32 v118, 0x3b7b, v88
	v_mul_f16_e32 v99, 0xbbf1, v88
	v_mul_f16_e32 v102, 0xbbf1, v127
	v_mul_f16_e32 v117, 0xb3a8, v127
	v_mul_f16_e32 v130, 0x3b7b, v127
	v_fmamk_f16 v27, v32, 0xb5ac, v111
	v_fmamk_f16 v28, v32, 0xbbc4, v121
	v_fmamk_f16 v140, v32, 0x388b, v90
	v_fma_f16 v142, v80, 0x388b, -v101
	v_fma_f16 v144, v80, 0xb5ac, -v119
	v_fma_f16 v146, v80, 0xbbc4, -v131
	v_add_f16_e32 v23, v25, v23
	v_add_f16_e32 v24, v25, v24
	v_add_f16_e32 v137, v25, v137
	v_add_f16_e32 v141, v55, v141
	v_add_f16_e32 v143, v55, v143
	v_add_f16_e32 v145, v55, v145
	v_add_f16_e32 v34, v76, v71
	v_sub_f16_e32 v95, v63, v60
	v_add_f16_e32 v82, v64, v57
	v_sub_f16_e32 v128, v75, v72
	v_mul_f16_e32 v108, 0x394e, v91
	v_mul_f16_e32 v114, 0x3770, v91
	v_mul_f16_e32 v97, 0xbb7b, v91
	v_mul_f16_e32 v100, 0xbb7b, v126
	v_mul_f16_e32 v116, 0x394e, v126
	v_mul_f16_e32 v129, 0x3770, v126
	v_fmamk_f16 v29, v33, 0xbbc4, v109
	v_fmamk_f16 v30, v33, 0xb5ac, v118
	v_fmamk_f16 v147, v33, 0x2fb7, v99
	v_fma_f16 v148, v81, 0x2fb7, -v102
	v_fma_f16 v149, v81, 0xbbc4, -v117
	v_fma_f16 v150, v81, 0xb5ac, -v130
	v_add_f16_e32 v23, v27, v23
	v_add_f16_e32 v24, v28, v24
	v_add_f16_e32 v27, v140, v137
	v_add_f16_e32 v28, v142, v141
	v_add_f16_e32 v137, v144, v143
	v_add_f16_e32 v140, v146, v145
	;; [unrolled: 22-line block ×3, first 2 shown]
	v_add_f16_e32 v36, v74, v73
	v_add_f16_e32 v84, v62, v61
	v_mul_f16_e32 v103, 0x3770, v104
	v_mul_f16_e32 v110, 0xb94e, v104
	v_mul_f16_e32 v92, 0xb3a8, v104
	v_mul_f16_e32 v96, 0xb3a8, v123
	v_mul_f16_e32 v107, 0x3770, v123
	v_mul_f16_e32 v125, 0xb94e, v123
	v_fmamk_f16 v135, v35, 0x2fb7, v106
	v_fmamk_f16 v136, v35, 0x388b, v112
	;; [unrolled: 1-line block ×3, first 2 shown]
	v_fma_f16 v156, v83, 0xb9fd, -v98
	v_fma_f16 v157, v83, 0x2fb7, -v115
	;; [unrolled: 1-line block ×3, first 2 shown]
	v_add_f16_e32 v23, v133, v23
	v_add_f16_e32 v24, v134, v24
	;; [unrolled: 1-line block ×6, first 2 shown]
	v_fmamk_f16 v138, v36, 0x3b15, v103
	v_fmamk_f16 v139, v36, 0xb9fd, v110
	;; [unrolled: 1-line block ×3, first 2 shown]
	v_fma_f16 v160, v84, 0xbbc4, -v96
	v_fma_f16 v161, v84, 0x3b15, -v107
	;; [unrolled: 1-line block ×3, first 2 shown]
	v_add_f16_e32 v23, v135, v23
	v_add_f16_e32 v133, v136, v24
	;; [unrolled: 1-line block ×12, first 2 shown]
	s_and_saveexec_b32 s0, vcc_lo
	s_cbranch_execz .LBB0_5
; %bb.4:
	v_mul_f16_e32 v134, 0xb3a8, v87
	v_mul_f16_e32 v140, 0x3770, v89
	;; [unrolled: 1-line block ×5, first 2 shown]
	v_fmamk_f16 v139, v31, 0xbbc4, v134
	v_fmamk_f16 v144, v80, 0x3b15, v140
	v_mul_f16_e32 v152, 0x3770, v86
	v_fma_f16 v151, v26, 0xbbc4, -v148
	v_mul_f16_e32 v153, 0xbb7b, v128
	v_add_f16_e32 v139, v55, v139
	v_mul_f16_e32 v155, 0xb94e, v88
	v_fma_f16 v154, v32, 0x3b15, -v152
	v_add_f16_e32 v151, v25, v151
	v_mul_f16_e32 v156, 0x3bf1, v123
	v_add_f16_e32 v139, v144, v139
	v_fmamk_f16 v144, v81, 0xb9fd, v145
	v_mul_f16_e32 v157, 0x3a95, v91
	v_add_f16_e32 v151, v154, v151
	v_fma_f16 v154, v33, 0xb9fd, -v155
	v_mul_f16_e32 v158, 0xb94e, v87
	v_add_f16_e32 v139, v144, v139
	v_fmamk_f16 v144, v82, 0x388b, v149
	v_mul_f16_e32 v159, 0xbb7b, v95
	v_add_f16_e32 v151, v154, v151
	v_fma_f16 v154, v34, 0x388b, -v157
	;; [unrolled: 6-line block ×3, first 2 shown]
	v_fmamk_f16 v162, v80, 0x2fb7, v160
	v_add_f16_e32 v139, v144, v139
	v_fmamk_f16 v144, v84, 0x2fb7, v156
	v_mul_f16_e32 v163, 0xba95, v127
	v_add_f16_e32 v151, v154, v151
	v_fma_f16 v154, v36, 0x2fb7, -v161
	v_mul_f16_e32 v164, 0xb94e, v85
	v_add_f16_e32 v139, v144, v139
	v_fmamk_f16 v144, v31, 0xb9fd, v158
	v_mul_f16_e32 v165, 0x33a8, v126
	v_add_f16_e32 v151, v154, v151
	v_fma_f16 v154, v26, 0xb9fd, -v164
	v_mul_f16_e32 v166, 0x3bf1, v86
	v_add_f16_e32 v144, v55, v144
	v_mul_f16_e32 v167, 0x3770, v128
	v_mul_f16_e32 v169, 0xba95, v88
	v_add_f16_e32 v154, v25, v154
	v_fma_f16 v168, v32, 0x2fb7, -v166
	v_add_f16_e32 v144, v162, v144
	v_fmamk_f16 v162, v81, 0x388b, v163
	v_mul_f16_e32 v170, 0xbb7b, v123
	v_mul_f16_e32 v171, 0x33a8, v91
	v_add_f16_e32 v154, v168, v154
	v_fma_f16 v168, v33, 0x388b, -v169
	v_add_f16_e32 v144, v162, v144
	v_fmamk_f16 v162, v82, 0xbbc4, v165
	;; [unrolled: 6-line block ×4, first 2 shown]
	v_add_f16_e32 v68, v55, v68
	v_fmamk_f16 v174, v80, 0xb9fd, v89
	v_mul_f16_e32 v127, 0x3770, v127
	v_add_f16_e32 v154, v168, v154
	v_add_f16_e32 v144, v162, v144
	v_fmamk_f16 v162, v31, 0xb5ac, v87
	v_fma_f16 v168, v36, 0xb5ac, -v173
	v_mul_f16_e32 v85, 0xbb7b, v85
	v_add_f16_e32 v79, v25, v79
	v_add_f16_e32 v66, v68, v66
	;; [unrolled: 1-line block ×3, first 2 shown]
	v_mul_f16_e32 v141, 0x2fb7, v31
	v_mul_f16_e32 v126, 0xbbf1, v126
	v_add_f16_e32 v154, v168, v154
	v_fma_f16 v168, v26, 0xb5ac, -v85
	v_add_f16_e32 v162, v174, v162
	v_fmamk_f16 v174, v81, 0x3b15, v127
	v_mul_f16_e32 v86, 0x394e, v86
	v_add_f16_e32 v78, v79, v78
	v_add_f16_e32 v65, v66, v65
	v_mul_f16_e32 v135, 0x3b15, v31
	v_add_f16_e32 v162, v174, v162
	v_fmamk_f16 v174, v82, 0x2fb7, v126
	v_mul_f16_e32 v128, 0x33a8, v128
	v_add_f16_e32 v168, v25, v168
	v_fma_f16 v175, v32, 0xb9fd, -v86
	v_mul_f16_e32 v88, 0x3770, v88
	v_mul_f16_e32 v176, 0xbbc4, v80
	v_add_f16_e32 v132, v132, v141
	v_add_f16_e32 v77, v78, v77
	;; [unrolled: 1-line block ×3, first 2 shown]
	v_mul_f16_e32 v133, 0x3b15, v26
	v_mul_f16_e32 v143, 0x388b, v80
	v_add_f16_e32 v162, v174, v162
	v_fmamk_f16 v174, v83, 0xbbc4, v128
	v_add_f16_e32 v168, v175, v168
	v_fma_f16 v175, v33, 0x3b15, -v88
	v_mul_f16_e32 v91, 0xbbf1, v91
	v_add_f16_e32 v132, v55, v132
	v_add_f16_e32 v131, v131, v176
	v_mul_f16_e32 v176, 0xb5ac, v81
	v_add_f16_e32 v78, v105, v135
	v_add_f16_e32 v76, v77, v76
	;; [unrolled: 1-line block ×3, first 2 shown]
	v_mul_f16_e32 v142, 0x388b, v32
	v_add_f16_e32 v162, v174, v162
	v_mul_f16_e32 v174, 0x2fb7, v81
	v_add_f16_e32 v168, v175, v168
	v_fma_f16 v175, v34, 0x2fb7, -v91
	v_mul_f16_e32 v95, 0x33a8, v95
	v_add_f16_e32 v131, v131, v132
	v_add_f16_e32 v130, v130, v176
	v_mul_f16_e32 v176, 0x3b15, v82
	v_sub_f16_e32 v93, v133, v93
	v_add_f16_e32 v77, v55, v78
	v_add_f16_e32 v65, v101, v143
	;; [unrolled: 1-line block ×4, first 2 shown]
	v_mul_f16_e32 v138, 0x2fb7, v26
	v_mul_f16_e32 v141, 0x2fb7, v33
	v_add_f16_e32 v168, v175, v168
	v_fma_f16 v132, v35, 0xbbc4, -v95
	v_mul_f16_e32 v123, 0x3a95, v123
	v_add_f16_e32 v130, v130, v131
	v_add_f16_e32 v129, v129, v176
	;; [unrolled: 1-line block ×3, first 2 shown]
	v_sub_f16_e32 v76, v142, v90
	v_add_f16_e32 v64, v65, v77
	v_add_f16_e32 v65, v102, v174
	;; [unrolled: 1-line block ×4, first 2 shown]
	v_mul_f16_e32 v137, 0x388b, v31
	v_mul_f16_e32 v150, 0xbbc4, v32
	v_add_f16_e32 v132, v132, v168
	v_fmamk_f16 v168, v84, 0x388b, v123
	v_add_f16_e32 v129, v129, v130
	v_mul_f16_e32 v130, 0xb5ac, v34
	v_sub_f16_e32 v122, v138, v122
	v_add_f16_e32 v75, v76, v78
	v_sub_f16_e32 v63, v141, v99
	v_add_f16_e32 v64, v65, v64
	v_add_f16_e32 v65, v74, v73
	;; [unrolled: 1-line block ×3, first 2 shown]
	v_mul_f16_e32 v104, 0x3a95, v104
	v_mul_f16_e32 v147, 0xb5ac, v80
	v_add_f16_e32 v162, v168, v162
	v_mul_f16_e32 v168, 0xb5ac, v33
	v_mul_f16_e32 v138, 0xb5ac, v82
	v_sub_f16_e32 v121, v150, v121
	v_add_f16_e32 v122, v25, v122
	v_add_f16_e32 v120, v120, v137
	;; [unrolled: 1-line block ×3, first 2 shown]
	v_sub_f16_e32 v63, v130, v97
	v_add_f16_e32 v65, v65, v72
	v_add_f16_e32 v57, v60, v57
	v_mul_f16_e32 v136, 0x388b, v26
	v_fma_f16 v131, v36, 0x388b, -v104
	v_add_f16_e32 v121, v121, v122
	v_mul_f16_e32 v122, 0xb9fd, v35
	v_mul_f16_e32 v137, 0xb9fd, v83
	v_sub_f16_e32 v118, v168, v118
	v_add_f16_e32 v119, v119, v147
	v_add_f16_e32 v120, v55, v120
	;; [unrolled: 1-line block ×6, first 2 shown]
	v_mul_f16_e32 v146, 0xb5ac, v32
	v_add_f16_e32 v131, v131, v132
	v_mul_f16_e32 v132, 0x388b, v83
	v_sub_f16_e32 v113, v136, v113
	v_add_f16_e32 v118, v118, v121
	v_mul_f16_e32 v121, 0xbbc4, v36
	v_add_f16_e32 v119, v119, v120
	v_mul_f16_e32 v120, 0xbbc4, v84
	v_add_f16_e32 v64, v73, v64
	v_add_f16_e32 v61, v98, v137
	v_sub_f16_e32 v65, v122, v94
	v_add_f16_e32 v63, v63, v69
	v_add_f16_e32 v57, v57, v59
	v_mul_f16_e32 v175, 0xbbc4, v33
	v_mul_f16_e32 v176, 0xbbc4, v81
	v_add_f16_e32 v124, v124, v132
	v_add_f16_e32 v113, v25, v113
	v_sub_f16_e32 v111, v146, v111
	v_add_f16_e32 v60, v61, v64
	v_add_f16_e32 v61, v96, v120
	;; [unrolled: 1-line block ×3, first 2 shown]
	v_sub_f16_e32 v58, v121, v92
	v_add_f16_e32 v63, v63, v70
	v_fma_f16 v59, v31, 0xbbc4, -v134
	v_fmac_f16_e32 v148, 0xbbc4, v26
	v_add_f16_e32 v56, v57, v56
	v_fma_f16 v57, v31, 0xb9fd, -v158
	v_fmac_f16_e32 v164, 0xb9fd, v26
	v_fma_f16 v31, v31, 0xb5ac, -v87
	v_fmac_f16_e32 v85, 0xb5ac, v26
	v_mul_f16_e32 v132, 0xb9fd, v84
	v_mul_f16_e32 v150, 0xb9fd, v34
	v_add_f16_e32 v124, v124, v129
	v_mul_f16_e32 v129, 0xb9fd, v82
	v_add_f16_e32 v117, v117, v176
	v_add_f16_e32 v111, v111, v113
	v_sub_f16_e32 v109, v175, v109
	v_add_f16_e32 v60, v61, v60
	v_add_f16_e32 v58, v58, v62
	;; [unrolled: 1-line block ×4, first 2 shown]
	v_fma_f16 v62, v80, 0x3b15, -v140
	v_add_f16_e32 v63, v25, v148
	v_fmac_f16_e32 v152, 0x3b15, v32
	v_add_f16_e32 v57, v55, v57
	v_fma_f16 v65, v80, 0x2fb7, -v160
	v_add_f16_e32 v26, v25, v164
	v_fmac_f16_e32 v166, 0x2fb7, v32
	v_add_f16_e32 v31, v55, v31
	;; [unrolled: 4-line block ×3, first 2 shown]
	v_mul_f16_e32 v132, 0x3b15, v34
	v_mul_f16_e32 v168, 0x2fb7, v35
	;; [unrolled: 1-line block ×3, first 2 shown]
	v_add_f16_e32 v117, v117, v119
	v_add_f16_e32 v116, v116, v129
	v_add_f16_e32 v109, v109, v111
	v_sub_f16_e32 v108, v150, v108
	v_add_f16_e32 v59, v62, v59
	v_fma_f16 v62, v81, 0xb9fd, -v145
	v_add_f16_e32 v63, v152, v63
	v_fmac_f16_e32 v155, 0xb9fd, v33
	v_add_f16_e32 v57, v65, v57
	v_fma_f16 v65, v81, 0x388b, -v163
	v_add_f16_e32 v26, v166, v26
	v_fmac_f16_e32 v169, 0x388b, v33
	;; [unrolled: 4-line block ×3, first 2 shown]
	v_add_f16_e32 v124, v125, v124
	v_mul_f16_e32 v125, 0x388b, v35
	v_sub_f16_e32 v114, v132, v114
	v_mul_f16_e32 v136, 0x3b15, v36
	v_mul_f16_e32 v176, 0x3b15, v84
	v_add_f16_e32 v113, v116, v117
	v_add_f16_e32 v115, v115, v147
	;; [unrolled: 1-line block ×3, first 2 shown]
	v_sub_f16_e32 v106, v168, v106
	v_add_f16_e32 v59, v62, v59
	v_fma_f16 v62, v82, 0x388b, -v149
	v_add_f16_e32 v63, v155, v63
	v_fmac_f16_e32 v157, 0x388b, v34
	v_add_f16_e32 v57, v65, v57
	v_fma_f16 v65, v82, 0xbbc4, -v165
	v_add_f16_e32 v26, v169, v26
	v_fmac_f16_e32 v171, 0xbbc4, v34
	;; [unrolled: 4-line block ×3, first 2 shown]
	v_mul_f16_e32 v132, 0xb9fd, v36
	v_add_f16_e32 v114, v114, v118
	v_sub_f16_e32 v112, v125, v112
	v_add_f16_e32 v111, v115, v113
	v_add_f16_e32 v107, v107, v176
	;; [unrolled: 1-line block ×3, first 2 shown]
	v_sub_f16_e32 v66, v136, v103
	v_add_f16_e32 v59, v62, v59
	v_fma_f16 v62, v83, 0xb5ac, -v153
	v_add_f16_e32 v63, v157, v63
	v_fmac_f16_e32 v159, 0xb5ac, v35
	v_add_f16_e32 v57, v65, v57
	v_fma_f16 v65, v83, 0x3b15, -v167
	v_add_f16_e32 v26, v171, v26
	v_fmac_f16_e32 v172, 0x3b15, v35
	;; [unrolled: 4-line block ×3, first 2 shown]
	v_add_f16_e32 v112, v112, v114
	v_sub_f16_e32 v110, v132, v110
	v_add_f16_e32 v68, v107, v111
	v_add_f16_e32 v64, v66, v106
	;; [unrolled: 1-line block ×3, first 2 shown]
	v_fma_f16 v62, v84, 0x2fb7, -v156
	v_add_f16_e32 v63, v159, v63
	v_fmac_f16_e32 v161, 0x2fb7, v36
	v_add_f16_e32 v57, v65, v57
	v_fma_f16 v65, v84, 0xb5ac, -v170
	v_add_f16_e32 v26, v172, v26
	v_fmac_f16_e32 v173, 0xb5ac, v36
	v_add_f16_e32 v31, v32, v31
	;; [unrolled: 4-line block ×3, first 2 shown]
	v_pack_b32_f16 v33, v61, v56
	v_lshl_add_u32 v34, v45, 2, v49
	v_pack_b32_f16 v35, v58, v60
	v_pack_b32_f16 v36, v64, v68
	v_add_f16_e32 v59, v62, v59
	v_add_f16_e32 v62, v161, v63
	;; [unrolled: 1-line block ×6, first 2 shown]
	ds_write_b32 v42, v33
	ds_write2_b32 v34, v35, v36 offset0:50 offset1:100
	v_pack_b32_f16 v32, v79, v124
	v_pack_b32_f16 v33, v131, v162
	;; [unrolled: 1-line block ×4, first 2 shown]
	v_add_nc_u32_e32 v55, 0x200, v34
	v_pack_b32_f16 v56, v62, v59
	v_pack_b32_f16 v26, v26, v57
	v_add_nc_u32_e32 v57, 0x400, v34
	v_pack_b32_f16 v25, v25, v31
	v_perm_b32 v31, v27, v23, 0x5040100
	v_perm_b32 v58, v29, v24, 0x5040100
	;; [unrolled: 1-line block ×3, first 2 shown]
	v_add_nc_u32_e32 v60, 0x800, v34
	ds_write2_b32 v34, v32, v33 offset0:150 offset1:200
	ds_write2_b32 v55, v35, v36 offset0:122 offset1:172
	ds_write2_b32 v57, v56, v26 offset0:94 offset1:144
	ds_write2_b32 v57, v25, v31 offset0:194 offset1:244
	ds_write2_b32 v60, v58, v59 offset0:38 offset1:88
.LBB0_5:
	s_or_b32 exec_lo, exec_lo, s0
	s_waitcnt lgkmcnt(0)
	s_barrier
	buffer_gl0_inv
	global_load_dword v55, v[21:22], off offset:552
	v_add_co_u32 v21, s0, 0xa28, v50
	v_add_co_ci_u32_e64 v22, s0, 0, v51, s0
	v_add_co_u32 v25, s0, 0x1000, v50
	v_add_co_ci_u32_e64 v26, s0, 0, v51, s0
	s_clause 0x8
	global_load_dword v56, v[21:22], off offset:260
	global_load_dword v57, v[21:22], off offset:520
	;; [unrolled: 1-line block ×9, first 2 shown]
	v_add_nc_u32_e32 v25, 0x400, v42
	ds_read2_b32 v[21:22], v42 offset1:65
	ds_read2_b32 v[31:32], v42 offset0:130 offset1:195
	ds_read2_b32 v[33:34], v25 offset0:4 offset1:69
	v_add_nc_u32_e32 v64, 0x800, v42
	ds_read2_b32 v[35:36], v25 offset0:134 offset1:199
	ds_read2_b32 v[50:51], v64 offset0:8 offset1:73
	s_waitcnt lgkmcnt(4)
	v_lshrrev_b32_e32 v65, 16, v21
	v_lshrrev_b32_e32 v66, 16, v22
	s_waitcnt lgkmcnt(3)
	v_lshrrev_b32_e32 v67, 16, v31
	v_lshrrev_b32_e32 v68, 16, v32
	;; [unrolled: 3-line block ×5, first 2 shown]
	s_waitcnt vmcnt(9)
	v_mul_f16_sdwa v72, v65, v55 dst_sel:DWORD dst_unused:UNUSED_PAD src0_sel:DWORD src1_sel:WORD_1
	v_mul_f16_sdwa v73, v21, v55 dst_sel:DWORD dst_unused:UNUSED_PAD src0_sel:DWORD src1_sel:WORD_1
	v_fma_f16 v21, v21, v55, -v72
	v_fmac_f16_e32 v73, v65, v55
	s_waitcnt vmcnt(8)
	v_mul_f16_sdwa v55, v66, v56 dst_sel:DWORD dst_unused:UNUSED_PAD src0_sel:DWORD src1_sel:WORD_1
	v_mul_f16_sdwa v65, v22, v56 dst_sel:DWORD dst_unused:UNUSED_PAD src0_sel:DWORD src1_sel:WORD_1
	s_waitcnt vmcnt(7)
	v_mul_f16_sdwa v72, v67, v57 dst_sel:DWORD dst_unused:UNUSED_PAD src0_sel:DWORD src1_sel:WORD_1
	v_mul_f16_sdwa v77, v31, v57 dst_sel:DWORD dst_unused:UNUSED_PAD src0_sel:DWORD src1_sel:WORD_1
	;; [unrolled: 3-line block ×9, first 2 shown]
	v_fma_f16 v22, v22, v56, -v55
	v_fmac_f16_e32 v65, v66, v56
	v_fma_f16 v31, v31, v57, -v72
	v_fmac_f16_e32 v77, v67, v57
	;; [unrolled: 2-line block ×9, first 2 shown]
	v_pack_b32_f16 v21, v21, v73
	v_pack_b32_f16 v22, v22, v65
	;; [unrolled: 1-line block ×10, first 2 shown]
	ds_write2_b32 v42, v21, v22 offset1:65
	ds_write2_b32 v42, v26, v31 offset0:130 offset1:195
	ds_write2_b32 v25, v32, v33 offset0:4 offset1:69
	;; [unrolled: 1-line block ×4, first 2 shown]
	s_waitcnt lgkmcnt(0)
	s_barrier
	buffer_gl0_inv
	ds_read2_b32 v[21:22], v42 offset0:130 offset1:195
	ds_read2_b32 v[31:32], v25 offset0:4 offset1:69
	;; [unrolled: 1-line block ×4, first 2 shown]
	ds_read2_b32 v[50:51], v42 offset1:65
	s_waitcnt lgkmcnt(0)
	s_barrier
	buffer_gl0_inv
	v_sub_f16_e32 v58, v21, v31
	v_sub_f16_e32 v61, v31, v21
	;; [unrolled: 1-line block ×4, first 2 shown]
	v_sub_f16_sdwa v68, v21, v31 dst_sel:DWORD dst_unused:UNUSED_PAD src0_sel:WORD_1 src1_sel:WORD_1
	v_sub_f16_sdwa v69, v35, v33 dst_sel:DWORD dst_unused:UNUSED_PAD src0_sel:WORD_1 src1_sel:WORD_1
	v_add_f16_e32 v72, v32, v34
	v_pk_add_f16 v80, v51, v22
	v_add_f16_sdwa v81, v32, v34 dst_sel:DWORD dst_unused:UNUSED_PAD src0_sel:WORD_1 src1_sel:WORD_1
	v_lshrrev_b32_e32 v82, 16, v51
	v_add_f16_sdwa v87, v22, v36 dst_sel:DWORD dst_unused:UNUSED_PAD src0_sel:WORD_1 src1_sel:WORD_1
	v_add_f16_e32 v26, v31, v33
	v_add_f16_e32 v59, v21, v35
	v_pk_add_f16 v62, v50, v21
	v_add_f16_sdwa v63, v31, v33 dst_sel:DWORD dst_unused:UNUSED_PAD src0_sel:WORD_1 src1_sel:WORD_1
	v_lshrrev_b32_e32 v65, 16, v50
	v_add_f16_sdwa v70, v21, v35 dst_sel:DWORD dst_unused:UNUSED_PAD src0_sel:WORD_1 src1_sel:WORD_1
	v_sub_f16_sdwa v73, v22, v36 dst_sel:DWORD dst_unused:UNUSED_PAD src0_sel:WORD_1 src1_sel:WORD_1
	v_sub_f16_sdwa v74, v32, v34 dst_sel:DWORD dst_unused:UNUSED_PAD src0_sel:WORD_1 src1_sel:WORD_1
	v_sub_f16_e32 v75, v36, v34
	v_sub_f16_e32 v76, v22, v32
	v_add_f16_e32 v77, v22, v36
	v_sub_f16_e32 v79, v32, v22
	v_sub_f16_e32 v83, v22, v36
	;; [unrolled: 1-line block ×3, first 2 shown]
	v_sub_f16_sdwa v85, v22, v32 dst_sel:DWORD dst_unused:UNUSED_PAD src0_sel:WORD_1 src1_sel:WORD_1
	v_sub_f16_sdwa v22, v32, v22 dst_sel:DWORD dst_unused:UNUSED_PAD src0_sel:WORD_1 src1_sel:WORD_1
	v_add_f16_e32 v57, v58, v57
	v_add_f16_e32 v58, v61, v60
	;; [unrolled: 1-line block ×3, first 2 shown]
	v_fma_f16 v61, -0.5, v72, v51
	v_pk_add_f16 v32, v80, v32
	v_fma_f16 v68, -0.5, v81, v82
	v_fmac_f16_e32 v82, -0.5, v87
	v_sub_f16_sdwa v55, v21, v35 dst_sel:DWORD dst_unused:UNUSED_PAD src0_sel:WORD_1 src1_sel:WORD_1
	v_sub_f16_sdwa v56, v31, v33 dst_sel:DWORD dst_unused:UNUSED_PAD src0_sel:WORD_1 src1_sel:WORD_1
	v_sub_f16_e32 v66, v21, v35
	v_sub_f16_e32 v67, v31, v33
	v_sub_f16_sdwa v21, v31, v21 dst_sel:DWORD dst_unused:UNUSED_PAD src0_sel:WORD_1 src1_sel:WORD_1
	v_sub_f16_e32 v78, v34, v36
	v_sub_f16_sdwa v86, v36, v34 dst_sel:DWORD dst_unused:UNUSED_PAD src0_sel:WORD_1 src1_sel:WORD_1
	v_sub_f16_sdwa v88, v34, v36 dst_sel:DWORD dst_unused:UNUSED_PAD src0_sel:WORD_1 src1_sel:WORD_1
	v_fma_f16 v26, -0.5, v26, v50
	v_fma_f16 v50, -0.5, v59, v50
	v_pk_add_f16 v31, v62, v31
	v_fma_f16 v59, -0.5, v63, v65
	v_fmac_f16_e32 v65, -0.5, v70
	v_add_f16_e32 v62, v76, v75
	v_fma_f16 v51, -0.5, v77, v51
	v_fmamk_f16 v75, v73, 0xbb9c, v61
	v_pk_add_f16 v32, v32, v34
	v_fmamk_f16 v34, v83, 0x3b9c, v68
	v_fmamk_f16 v77, v84, 0xbb9c, v82
	v_fmac_f16_e32 v82, 0x3b9c, v84
	v_sub_f16_sdwa v71, v33, v35 dst_sel:DWORD dst_unused:UNUSED_PAD src0_sel:WORD_1 src1_sel:WORD_1
	v_fmac_f16_e32 v68, 0xbb9c, v83
	v_add_f16_e32 v69, v85, v86
	v_add_f16_e32 v22, v22, v88
	v_fmamk_f16 v70, v55, 0xbb9c, v26
	v_fmac_f16_e32 v26, 0x3b9c, v55
	v_pk_add_f16 v31, v31, v33
	v_fmamk_f16 v72, v67, 0xbb9c, v65
	v_fmac_f16_e32 v65, 0x3b9c, v67
	v_fmamk_f16 v76, v74, 0x3b9c, v51
	v_fmac_f16_e32 v51, 0xbb9c, v74
	v_fmac_f16_e32 v75, 0xb8b4, v74
	;; [unrolled: 1-line block ×5, first 2 shown]
	v_add_f16_e32 v21, v21, v71
	v_fmamk_f16 v71, v56, 0x3b9c, v50
	v_fmac_f16_e32 v50, 0xbb9c, v56
	v_fmac_f16_e32 v61, 0x3b9c, v73
	v_fmac_f16_e32 v68, 0xb8b4, v84
	v_add_f16_e32 v63, v79, v78
	v_fmamk_f16 v33, v66, 0x3b9c, v59
	v_fmac_f16_e32 v70, 0xb8b4, v56
	v_fmac_f16_e32 v26, 0x38b4, v56
	v_pk_add_f16 v31, v31, v35
	v_fmac_f16_e32 v72, 0x38b4, v66
	v_fmac_f16_e32 v65, 0xb8b4, v66
	;; [unrolled: 1-line block ×4, first 2 shown]
	v_pk_add_f16 v32, v32, v36
	v_fmac_f16_e32 v75, 0x34f2, v62
	v_fmac_f16_e32 v34, 0x34f2, v69
	;; [unrolled: 1-line block ×16, first 2 shown]
	v_pk_add_f16 v21, v31, v32
	v_pk_add_f16 v32, v31, v32 neg_lo:[0,1] neg_hi:[0,1]
	v_mul_f16_e32 v22, 0xb8b4, v34
	v_mul_f16_e32 v31, 0xbb9c, v77
	;; [unrolled: 1-line block ×6, first 2 shown]
	v_fmac_f16_e32 v59, 0xb8b4, v67
	v_fmac_f16_e32 v71, 0x34f2, v58
	;; [unrolled: 1-line block ×4, first 2 shown]
	v_mul_f16_e32 v36, 0xb8b4, v68
	v_mul_f16_e32 v58, 0xba79, v68
	v_fmac_f16_e32 v33, 0x34f2, v60
	v_fmac_f16_e32 v22, 0x3a79, v75
	;; [unrolled: 1-line block ×10, first 2 shown]
	v_add_f16_e32 v51, v70, v22
	v_add_f16_e32 v60, v71, v31
	;; [unrolled: 1-line block ×8, first 2 shown]
	v_sub_f16_e32 v68, v70, v22
	v_sub_f16_e32 v31, v71, v31
	;; [unrolled: 1-line block ×8, first 2 shown]
	v_pack_b32_f16 v34, v34, v66
	v_pack_b32_f16 v33, v60, v63
	;; [unrolled: 1-line block ×8, first 2 shown]
	ds_write2_b64 v52, v[21:22], v[33:34] offset1:1
	ds_write2_b64 v52, v[31:32], v[35:36] offset0:2 offset1:3
	ds_write_b64 v52, v[50:51] offset:32
	s_waitcnt lgkmcnt(0)
	s_barrier
	buffer_gl0_inv
	ds_read2_b32 v[21:22], v42 offset1:65
	ds_read2_b32 v[33:34], v42 offset0:130 offset1:195
	ds_read2_b32 v[35:36], v25 offset0:4 offset1:69
	;; [unrolled: 1-line block ×4, first 2 shown]
	s_waitcnt lgkmcnt(0)
	s_barrier
	buffer_gl0_inv
	v_lshrrev_b32_e32 v32, 16, v21
	v_lshrrev_b32_e32 v26, 16, v33
	;; [unrolled: 1-line block ×4, first 2 shown]
	v_mul_f16_sdwa v63, v4, v33 dst_sel:DWORD dst_unused:UNUSED_PAD src0_sel:WORD_1 src1_sel:DWORD
	v_mul_f16_sdwa v64, v5, v35 dst_sel:DWORD dst_unused:UNUSED_PAD src0_sel:WORD_1 src1_sel:DWORD
	v_lshrrev_b32_e32 v58, 16, v55
	v_mul_f16_sdwa v65, v6, v50 dst_sel:DWORD dst_unused:UNUSED_PAD src0_sel:WORD_1 src1_sel:DWORD
	v_lshrrev_b32_e32 v59, 16, v34
	v_lshrrev_b32_e32 v60, 16, v36
	;; [unrolled: 1-line block ×4, first 2 shown]
	v_mul_f16_sdwa v66, v7, v55 dst_sel:DWORD dst_unused:UNUSED_PAD src0_sel:WORD_1 src1_sel:DWORD
	v_mul_f16_sdwa v67, v0, v34 dst_sel:DWORD dst_unused:UNUSED_PAD src0_sel:WORD_1 src1_sel:DWORD
	;; [unrolled: 1-line block ×5, first 2 shown]
	v_fma_f16 v26, v4, v26, -v63
	v_mul_f16_sdwa v63, v5, v52 dst_sel:DWORD dst_unused:UNUSED_PAD src0_sel:WORD_1 src1_sel:DWORD
	v_fma_f16 v52, v5, v52, -v64
	v_mul_f16_sdwa v64, v6, v57 dst_sel:DWORD dst_unused:UNUSED_PAD src0_sel:WORD_1 src1_sel:DWORD
	;; [unrolled: 2-line block ×3, first 2 shown]
	v_mul_f16_sdwa v70, v3, v56 dst_sel:DWORD dst_unused:UNUSED_PAD src0_sel:WORD_1 src1_sel:DWORD
	v_fma_f16 v58, v7, v58, -v66
	v_mul_f16_sdwa v66, v0, v59 dst_sel:DWORD dst_unused:UNUSED_PAD src0_sel:WORD_1 src1_sel:DWORD
	v_fma_f16 v59, v0, v59, -v67
	;; [unrolled: 2-line block ×4, first 2 shown]
	v_mul_f16_sdwa v69, v3, v62 dst_sel:DWORD dst_unused:UNUSED_PAD src0_sel:WORD_1 src1_sel:DWORD
	v_fmac_f16_e32 v63, v5, v35
	v_fmac_f16_e32 v64, v6, v50
	;; [unrolled: 1-line block ×4, first 2 shown]
	v_lshrrev_b32_e32 v31, 16, v22
	v_fma_f16 v62, v3, v62, -v70
	v_fmac_f16_e32 v67, v1, v36
	v_fmac_f16_e32 v68, v2, v51
	;; [unrolled: 1-line block ×3, first 2 shown]
	v_sub_f16_e32 v2, v26, v52
	v_sub_f16_e32 v3, v58, v57
	v_fmac_f16_e32 v66, v0, v34
	v_add_f16_e32 v0, v32, v26
	v_add_f16_e32 v1, v52, v57
	;; [unrolled: 1-line block ×4, first 2 shown]
	v_sub_f16_e32 v6, v52, v26
	v_sub_f16_e32 v7, v57, v58
	v_add_f16_e32 v77, v71, v65
	v_sub_f16_e32 v5, v26, v58
	v_add_f16_e32 v26, v31, v59
	v_add_f16_e32 v33, v60, v61
	;; [unrolled: 1-line block ×6, first 2 shown]
	v_sub_f16_e32 v34, v59, v60
	v_sub_f16_e32 v50, v62, v61
	v_add_f16_e32 v73, v21, v71
	v_sub_f16_e32 v75, v71, v63
	v_sub_f16_e32 v78, v63, v71
	v_add_f16_e32 v0, v0, v52
	v_fma_f16 v35, -0.5, v1, v32
	v_sub_f16_e32 v71, v71, v65
	v_fmac_f16_e32 v32, -0.5, v4
	v_add_f16_e32 v1, v22, v66
	v_fma_f16 v4, -0.5, v74, v21
	v_sub_f16_e32 v55, v52, v57
	v_sub_f16_e32 v80, v63, v64
	v_add_f16_e32 v82, v6, v7
	v_sub_f16_e32 v3, v66, v67
	v_sub_f16_e32 v6, v69, v68
	v_fma_f16 v7, -0.5, v77, v21
	v_sub_f16_e32 v56, v59, v62
	v_sub_f16_e32 v70, v60, v61
	;; [unrolled: 1-line block ×4, first 2 shown]
	v_add_f16_e32 v60, v26, v60
	v_fma_f16 v36, -0.5, v33, v31
	v_sub_f16_e32 v66, v66, v69
	v_fma_f16 v26, -0.5, v2, v22
	v_sub_f16_e32 v86, v67, v68
	v_fmac_f16_e32 v31, -0.5, v51
	v_fmac_f16_e32 v22, -0.5, v83
	v_sub_f16_e32 v76, v65, v64
	v_add_f16_e32 v87, v34, v50
	v_add_f16_e32 v50, v73, v63
	;; [unrolled: 1-line block ×3, first 2 shown]
	v_fmamk_f16 v52, v71, 0x3b9c, v35
	v_add_f16_e32 v57, v1, v67
	v_fmamk_f16 v1, v5, 0xbb9c, v4
	v_sub_f16_e32 v72, v61, v62
	v_sub_f16_e32 v79, v64, v65
	v_fmamk_f16 v51, v80, 0xbb9c, v32
	v_fmac_f16_e32 v32, 0x3b9c, v80
	v_add_f16_e32 v67, v3, v6
	v_fmamk_f16 v6, v55, 0x3b9c, v7
	v_fmac_f16_e32 v7, 0xbb9c, v55
	v_fmac_f16_e32 v35, 0xbb9c, v71
	;; [unrolled: 1-line block ×3, first 2 shown]
	v_fmamk_f16 v34, v66, 0x3b9c, v36
	v_fmamk_f16 v2, v56, 0xbb9c, v26
	v_sub_f16_e32 v85, v68, v69
	v_fmamk_f16 v33, v86, 0xbb9c, v31
	v_fmac_f16_e32 v31, 0x3b9c, v86
	v_fmamk_f16 v3, v70, 0x3b9c, v22
	v_fmac_f16_e32 v22, 0xbb9c, v70
	v_add_f16_e32 v63, v75, v76
	v_add_f16_e32 v60, v60, v61
	v_fmac_f16_e32 v36, 0xbb9c, v66
	v_add_f16_e32 v61, v50, v64
	v_fmac_f16_e32 v52, 0x38b4, v80
	v_fmac_f16_e32 v26, 0x3b9c, v56
	;; [unrolled: 1-line block ×3, first 2 shown]
	v_add_f16_e32 v59, v59, v72
	v_add_f16_e32 v72, v78, v79
	v_fmac_f16_e32 v51, 0x38b4, v71
	v_fmac_f16_e32 v32, 0xb8b4, v71
	;; [unrolled: 1-line block ×6, first 2 shown]
	v_add_f16_e32 v57, v57, v68
	v_fmac_f16_e32 v34, 0x38b4, v86
	v_fmac_f16_e32 v2, 0xb8b4, v70
	v_add_f16_e32 v73, v84, v85
	v_fmac_f16_e32 v33, 0x38b4, v66
	v_fmac_f16_e32 v31, 0xb8b4, v66
	;; [unrolled: 1-line block ×4, first 2 shown]
	v_add_f16_e32 v21, v0, v58
	v_fmac_f16_e32 v36, 0xb8b4, v86
	v_add_f16_e32 v0, v61, v65
	v_fmac_f16_e32 v52, 0x34f2, v81
	v_fmac_f16_e32 v26, 0x38b4, v70
	;; [unrolled: 1-line block ×9, first 2 shown]
	v_add_f16_e32 v50, v60, v62
	v_add_f16_e32 v5, v57, v69
	v_fmac_f16_e32 v34, 0x34f2, v87
	v_fmac_f16_e32 v2, 0x34f2, v67
	;; [unrolled: 1-line block ×8, first 2 shown]
	v_pack_b32_f16 v55, v0, v21
	v_pack_b32_f16 v57, v1, v52
	;; [unrolled: 1-line block ×10, first 2 shown]
	ds_write2_b32 v54, v55, v57 offset1:10
	ds_write2_b32 v54, v58, v59 offset0:20 offset1:30
	ds_write_b32 v54, v60 offset:160
	ds_write2_b32 v53, v56, v61 offset1:10
	ds_write2_b32 v53, v62, v63 offset0:20 offset1:30
	ds_write_b32 v53, v64 offset:160
	s_waitcnt lgkmcnt(0)
	s_barrier
	buffer_gl0_inv
	s_and_saveexec_b32 s0, vcc_lo
	s_cbranch_execz .LBB0_7
; %bb.6:
	v_add_nc_u32_e32 v21, 0x600, v42
	ds_read2_b32 v[0:1], v42 offset1:50
	ds_read2_b32 v[6:7], v42 offset0:100 offset1:150
	ds_read2_b32 v[4:5], v42 offset0:200 offset1:250
	;; [unrolled: 1-line block ×4, first 2 shown]
	ds_read_b32 v28, v42 offset:2400
	ds_read2_b32 v[23:24], v21 offset0:116 offset1:166
	s_waitcnt lgkmcnt(6)
	v_lshrrev_b32_e32 v21, 16, v0
	v_lshrrev_b32_e32 v52, 16, v1
	s_waitcnt lgkmcnt(5)
	v_lshrrev_b32_e32 v51, 16, v6
	v_lshrrev_b32_e32 v32, 16, v7
	;; [unrolled: 3-line block ×5, first 2 shown]
	s_waitcnt lgkmcnt(1)
	v_lshrrev_b32_e32 v30, 16, v28
	s_waitcnt lgkmcnt(0)
	v_lshrrev_b32_e32 v27, 16, v23
	v_lshrrev_b32_e32 v29, 16, v24
	v_mov_b32_e32 v22, v25
.LBB0_7:
	s_or_b32 exec_lo, exec_lo, s0
	s_and_saveexec_b32 s0, vcc_lo
	s_cbranch_execz .LBB0_9
; %bb.8:
	v_mul_f16_sdwa v25, v19, v28 dst_sel:DWORD dst_unused:UNUSED_PAD src0_sel:WORD_1 src1_sel:DWORD
	v_mul_f16_sdwa v53, v12, v1 dst_sel:DWORD dst_unused:UNUSED_PAD src0_sel:WORD_1 src1_sel:DWORD
	;; [unrolled: 1-line block ×5, first 2 shown]
	v_fma_f16 v25, v19, v30, -v25
	v_fma_f16 v53, v12, v52, -v53
	v_mul_f16_sdwa v52, v12, v52 dst_sel:DWORD dst_unused:UNUSED_PAD src0_sel:WORD_1 src1_sel:DWORD
	v_mul_f16_sdwa v30, v19, v30 dst_sel:DWORD dst_unused:UNUSED_PAD src0_sel:WORD_1 src1_sel:DWORD
	v_fma_f16 v54, v18, v29, -v54
	v_fma_f16 v55, v13, v51, -v55
	v_add_f16_e32 v56, v25, v53
	v_mul_f16_sdwa v51, v13, v51 dst_sel:DWORD dst_unused:UNUSED_PAD src0_sel:WORD_1 src1_sel:DWORD
	v_mul_f16_sdwa v29, v18, v29 dst_sel:DWORD dst_unused:UNUSED_PAD src0_sel:WORD_1 src1_sel:DWORD
	v_fmac_f16_e32 v52, v12, v1
	v_fmac_f16_e32 v30, v19, v28
	v_add_f16_e32 v28, v54, v55
	v_fmac_f16_e32 v51, v13, v6
	v_fmac_f16_e32 v29, v18, v24
	v_mul_f16_e32 v19, 0xbbc4, v56
	v_sub_f16_e32 v6, v52, v30
	v_mul_f16_e32 v18, 0x3b15, v28
	v_mul_f16_sdwa v24, v17, v23 dst_sel:DWORD dst_unused:UNUSED_PAD src0_sel:WORD_1 src1_sel:DWORD
	v_sub_f16_e32 v1, v51, v29
	v_mul_f16_sdwa v58, v14, v32 dst_sel:DWORD dst_unused:UNUSED_PAD src0_sel:WORD_1 src1_sel:DWORD
	v_fmamk_f16 v12, v6, 0x33a8, v19
	v_fma_f16 v32, v14, v32, -v57
	v_fma_f16 v24, v17, v27, -v24
	v_fmamk_f16 v13, v1, 0xb770, v18
	v_mul_f16_sdwa v27, v17, v27 dst_sel:DWORD dst_unused:UNUSED_PAD src0_sel:WORD_1 src1_sel:DWORD
	v_add_f16_e32 v12, v21, v12
	v_mul_f16_sdwa v57, v15, v4 dst_sel:DWORD dst_unused:UNUSED_PAD src0_sel:WORD_1 src1_sel:DWORD
	v_add_f16_e32 v59, v24, v32
	v_fmac_f16_e32 v58, v14, v7
	v_fmac_f16_e32 v27, v17, v23
	v_add_f16_e32 v12, v13, v12
	v_mul_f16_sdwa v13, v16, v26 dst_sel:DWORD dst_unused:UNUSED_PAD src0_sel:WORD_1 src1_sel:DWORD
	v_fma_f16 v23, v15, v35, -v57
	v_mul_f16_sdwa v35, v15, v35 dst_sel:DWORD dst_unused:UNUSED_PAD src0_sel:WORD_1 src1_sel:DWORD
	v_mul_f16_sdwa v14, v8, v5 dst_sel:DWORD dst_unused:UNUSED_PAD src0_sel:WORD_1 src1_sel:DWORD
	v_mul_f16_e32 v57, 0xb9fd, v59
	v_fma_f16 v17, v16, v36, -v13
	v_mul_f16_sdwa v36, v16, v36 dst_sel:DWORD dst_unused:UNUSED_PAD src0_sel:WORD_1 src1_sel:DWORD
	v_sub_f16_e32 v7, v58, v27
	v_fmac_f16_e32 v35, v15, v4
	v_mul_f16_sdwa v13, v11, v22 dst_sel:DWORD dst_unused:UNUSED_PAD src0_sel:WORD_1 src1_sel:DWORD
	v_add_f16_e32 v60, v17, v23
	v_fmac_f16_e32 v36, v16, v26
	v_fma_f16 v62, v8, v50, -v14
	v_mul_f16_sdwa v50, v8, v50 dst_sel:DWORD dst_unused:UNUSED_PAD src0_sel:WORD_1 src1_sel:DWORD
	v_fmamk_f16 v15, v7, 0x394e, v57
	v_mul_f16_e32 v26, 0x388b, v60
	v_sub_f16_e32 v4, v35, v36
	v_fma_f16 v61, v11, v31, -v13
	v_mul_f16_sdwa v31, v11, v31 dst_sel:DWORD dst_unused:UNUSED_PAD src0_sel:WORD_1 src1_sel:DWORD
	v_fmac_f16_e32 v50, v8, v5
	v_mul_f16_sdwa v8, v10, v3 dst_sel:DWORD dst_unused:UNUSED_PAD src0_sel:WORD_1 src1_sel:DWORD
	v_sub_f16_e32 v64, v53, v25
	v_add_f16_e32 v12, v15, v12
	v_fmamk_f16 v13, v4, 0xba95, v26
	v_fmac_f16_e32 v31, v11, v22
	v_mul_f16_sdwa v11, v9, v2 dst_sel:DWORD dst_unused:UNUSED_PAD src0_sel:WORD_1 src1_sel:DWORD
	v_fma_f16 v65, v10, v33, -v8
	v_add_f16_e32 v8, v30, v52
	v_mul_f16_e32 v67, 0xb3a8, v64
	v_sub_f16_e32 v68, v55, v54
	v_fma_f16 v66, v9, v34, -v11
	v_add_f16_e32 v13, v13, v12
	v_add_f16_e32 v11, v29, v51
	v_fmamk_f16 v12, v8, 0xbbc4, v67
	v_mul_f16_e32 v70, 0x3770, v68
	v_sub_f16_e32 v71, v32, v24
	v_add_f16_e32 v63, v61, v62
	v_mul_f16_sdwa v34, v9, v34 dst_sel:DWORD dst_unused:UNUSED_PAD src0_sel:WORD_1 src1_sel:DWORD
	v_mul_f16_sdwa v33, v10, v33 dst_sel:DWORD dst_unused:UNUSED_PAD src0_sel:WORD_1 src1_sel:DWORD
	v_add_f16_e32 v15, v0, v12
	v_fmamk_f16 v16, v11, 0x3b15, v70
	v_add_f16_e32 v12, v27, v58
	v_mul_f16_e32 v72, 0xb94e, v71
	v_sub_f16_e32 v73, v23, v17
	v_mul_f16_e32 v22, 0xb5ac, v63
	v_sub_f16_e32 v5, v50, v31
	v_add_f16_e32 v69, v65, v66
	v_fmac_f16_e32 v34, v9, v2
	v_fmac_f16_e32 v33, v10, v3
	v_add_f16_e32 v3, v16, v15
	v_fmamk_f16 v10, v12, 0xb9fd, v72
	v_add_f16_e32 v9, v36, v35
	v_mul_f16_e32 v74, 0x3a95, v73
	v_sub_f16_e32 v76, v62, v61
	v_fmamk_f16 v14, v5, 0x3b7b, v22
	v_mul_f16_e32 v75, 0x2fb7, v69
	v_sub_f16_e32 v2, v34, v33
	v_add_f16_e32 v3, v10, v3
	v_fmamk_f16 v15, v9, 0x388b, v74
	v_add_f16_e32 v10, v31, v50
	v_mul_f16_e32 v77, 0xbb7b, v76
	v_mul_f16_e32 v78, 0xb9fd, v56
	v_add_f16_e32 v13, v14, v13
	v_fmamk_f16 v14, v2, 0xbbf1, v75
	v_add_f16_e32 v15, v15, v3
	v_fmamk_f16 v16, v10, 0xb5ac, v77
	v_fmamk_f16 v79, v6, 0x394e, v78
	v_mul_f16_e32 v80, 0x2fb7, v28
	v_add_f16_e32 v3, v14, v13
	v_sub_f16_e32 v81, v66, v65
	v_add_f16_e32 v14, v16, v15
	v_add_f16_e32 v15, v21, v79
	v_fmamk_f16 v16, v1, 0xbbf1, v80
	v_mul_f16_e32 v79, 0x388b, v59
	v_mul_f16_e32 v83, 0xb94e, v64
	v_add_f16_e32 v13, v33, v34
	v_mul_f16_e32 v82, 0x3bf1, v81
	v_add_f16_e32 v15, v16, v15
	v_fmamk_f16 v16, v7, 0x3a95, v79
	v_mul_f16_e32 v84, 0xbbc4, v60
	v_fmamk_f16 v86, v8, 0xb9fd, v83
	v_mul_f16_e32 v87, 0x3bf1, v68
	v_fmamk_f16 v85, v13, 0x2fb7, v82
	v_add_f16_e32 v15, v16, v15
	v_fmamk_f16 v16, v4, 0xb3a8, v84
	v_mul_f16_e32 v88, 0x3b15, v63
	v_add_f16_e32 v86, v0, v86
	v_fmamk_f16 v89, v11, 0x2fb7, v87
	v_mul_f16_e32 v90, 0xba95, v71
	v_add_f16_e32 v15, v16, v15
	v_fmamk_f16 v16, v5, 0xb770, v88
	v_add_f16_e32 v14, v85, v14
	v_add_f16_e32 v85, v89, v86
	v_fmamk_f16 v86, v12, 0x388b, v90
	v_mul_f16_e32 v89, 0x33a8, v73
	v_add_f16_e32 v15, v16, v15
	v_mul_f16_e32 v97, 0xbb7b, v64
	v_mul_f16_e32 v101, 0x394e, v68
	v_add_f16_e32 v16, v86, v85
	v_fmamk_f16 v85, v9, 0xbbc4, v89
	v_mul_f16_e32 v86, 0x3770, v76
	v_fmamk_f16 v100, v8, 0xb5ac, v97
	v_mul_f16_e32 v91, 0xb5ac, v69
	v_mul_f16_e32 v92, 0xb5ac, v56
	v_add_f16_e32 v16, v85, v16
	v_fmamk_f16 v85, v10, 0x3b15, v86
	v_add_f16_e32 v100, v0, v100
	v_fmamk_f16 v103, v11, 0xb9fd, v101
	v_mul_f16_e32 v104, 0x3770, v71
	v_fmamk_f16 v93, v2, 0x3b7b, v91
	v_add_f16_e32 v16, v85, v16
	v_mul_f16_e32 v85, 0xbb7b, v81
	v_fmamk_f16 v94, v6, 0x3b7b, v92
	v_mul_f16_e32 v95, 0xb9fd, v28
	v_add_f16_e32 v15, v93, v15
	v_mul_f16_e32 v96, 0x3b15, v59
	v_fmamk_f16 v99, v13, 0xb5ac, v85
	v_add_f16_e32 v93, v21, v94
	v_fmamk_f16 v94, v1, 0xb94e, v95
	v_mul_f16_e32 v106, 0x33a8, v76
	v_mul_f16_e32 v98, 0x2fb7, v60
	v_add_f16_e32 v16, v99, v16
	v_add_f16_e32 v99, v103, v100
	v_fmamk_f16 v100, v12, 0x3b15, v104
	v_mul_f16_e32 v103, 0xbbf1, v73
	v_add_f16_e32 v93, v94, v93
	v_fmamk_f16 v94, v7, 0xb770, v96
	v_mul_f16_e32 v111, 0xbbf1, v64
	;; [unrolled: 3-line block ×3, first 2 shown]
	v_add_f16_e32 v93, v94, v93
	v_fmamk_f16 v94, v4, 0x3bf1, v98
	v_fmamk_f16 v114, v8, 0x2fb7, v111
	v_add_f16_e32 v99, v100, v99
	v_fmamk_f16 v100, v10, 0xbbc4, v106
	v_mul_f16_e32 v115, 0xb3a8, v68
	v_add_f16_e32 v93, v94, v93
	v_fmamk_f16 v94, v5, 0xb3a8, v102
	v_add_f16_e32 v114, v0, v114
	v_add_f16_e32 v99, v100, v99
	v_mul_f16_e32 v100, 0x3a95, v81
	v_fmamk_f16 v117, v11, 0xbbc4, v115
	v_mul_f16_e32 v118, 0x3b7b, v71
	v_add_f16_e32 v93, v94, v93
	v_mul_f16_e32 v94, 0x388b, v69
	v_fmamk_f16 v113, v13, 0x388b, v100
	v_mul_f16_e32 v105, 0x2fb7, v56
	v_mul_f16_e32 v109, 0xbbc4, v28
	;; [unrolled: 1-line block ×3, first 2 shown]
	v_fmamk_f16 v107, v2, 0xba95, v94
	v_add_f16_e32 v99, v113, v99
	v_add_f16_e32 v113, v117, v114
	v_fmamk_f16 v114, v12, 0xb5ac, v118
	v_mul_f16_e32 v117, 0x3770, v73
	v_fmamk_f16 v108, v6, 0x3bf1, v105
	v_add_f16_e32 v93, v107, v93
	v_mul_f16_e32 v110, 0xb5ac, v59
	v_add_f16_e32 v113, v114, v113
	v_fmamk_f16 v114, v9, 0x3b15, v117
	v_add_f16_e32 v107, v21, v108
	v_fmamk_f16 v108, v1, 0x33a8, v109
	v_mul_f16_e32 v112, 0x3b15, v60
	v_mul_f16_e32 v116, 0x388b, v63
	v_add_f16_e32 v113, v114, v113
	v_fmamk_f16 v114, v10, 0x388b, v120
	v_add_f16_e32 v107, v108, v107
	v_fmamk_f16 v108, v7, 0xbb7b, v110
	v_mul_f16_e32 v128, 0xbb7b, v68
	v_add_f16_e32 v52, v0, v52
	v_add_f16_e32 v113, v114, v113
	v_mul_f16_e32 v114, 0xba95, v64
	v_add_f16_e32 v107, v108, v107
	v_fmamk_f16 v108, v4, 0xb770, v112
	v_fmamk_f16 v130, v11, 0xb5ac, v128
	v_mul_f16_e32 v131, 0xb3a8, v71
	v_fmamk_f16 v127, v8, 0x388b, v114
	v_add_f16_e32 v53, v53, v21
	v_add_f16_e32 v107, v108, v107
	v_fmamk_f16 v108, v5, 0x3a95, v116
	v_add_f16_e32 v51, v51, v52
	v_add_f16_e32 v127, v0, v127
	v_mul_f16_e32 v133, 0x394e, v73
	v_add_f16_e32 v53, v55, v53
	v_add_f16_e32 v107, v108, v107
	v_mul_f16_e32 v108, 0x388b, v56
	v_add_f16_e32 v127, v130, v127
	v_fmamk_f16 v130, v12, 0xbbc4, v131
	v_mul_f16_e32 v56, 0x3b15, v56
	v_add_f16_e32 v51, v58, v51
	v_fmamk_f16 v121, v6, 0x3a95, v108
	v_mul_f16_e32 v122, 0xb5ac, v28
	v_mul_f16_e32 v126, 0xb94e, v81
	v_add_f16_e32 v127, v130, v127
	v_fmamk_f16 v130, v9, 0xb9fd, v133
	v_mul_f16_e32 v134, 0x3bf1, v76
	v_fmamk_f16 v135, v6, 0x3770, v56
	v_mul_f16_e32 v28, 0x388b, v28
	v_add_f16_e32 v32, v32, v53
	v_add_f16_e32 v35, v35, v51
	;; [unrolled: 1-line block ×3, first 2 shown]
	v_fmamk_f16 v124, v1, 0x3b7b, v122
	v_mul_f16_e32 v125, 0xbbc4, v59
	v_fmamk_f16 v132, v13, 0xb9fd, v126
	v_add_f16_e32 v127, v130, v127
	v_fmamk_f16 v130, v10, 0x2fb7, v134
	v_add_f16_e32 v135, v21, v135
	v_fmamk_f16 v137, v1, 0x3a95, v28
	v_mul_f16_e32 v59, 0x2fb7, v59
	v_add_f16_e32 v23, v23, v32
	v_add_f16_e32 v35, v50, v35
	v_add_f16_e32 v121, v124, v121
	v_mul_f16_e32 v124, 0xb9fd, v60
	v_add_f16_e32 v113, v132, v113
	v_add_f16_e32 v127, v130, v127
	;; [unrolled: 1-line block ×3, first 2 shown]
	v_fmamk_f16 v132, v7, 0x3bf1, v59
	v_mul_f16_e32 v60, 0xb5ac, v60
	v_mul_f16_e32 v64, 0xb770, v64
	v_add_f16_e32 v23, v62, v23
	v_add_f16_e32 v34, v34, v35
	;; [unrolled: 1-line block ×3, first 2 shown]
	v_fmamk_f16 v55, v4, 0x3b7b, v60
	v_fmamk_f16 v53, v8, 0x3b15, v64
	v_mul_f16_e32 v51, 0xba95, v68
	v_add_f16_e32 v23, v66, v23
	v_add_f16_e32 v33, v33, v34
	;; [unrolled: 1-line block ×4, first 2 shown]
	v_fmamk_f16 v50, v11, 0x388b, v51
	v_mul_f16_e32 v55, 0xbbf1, v71
	v_add_f16_e32 v23, v65, v23
	v_add_f16_e32 v31, v31, v33
	v_mul_f16_e32 v33, 0xb94e, v76
	v_add_f16_e32 v35, v50, v53
	v_fmamk_f16 v50, v12, 0x2fb7, v55
	v_mul_f16_e32 v53, 0xbb7b, v73
	v_add_f16_e32 v23, v61, v23
	v_add_f16_e32 v31, v36, v31
	v_fmamk_f16 v36, v10, 0xb9fd, v33
	v_add_f16_e32 v35, v50, v35
	v_fmamk_f16 v50, v9, 0xb5ac, v53
	v_add_f16_e32 v17, v17, v23
	v_add_f16_e32 v27, v27, v31
	v_mul_f16_e32 v23, 0xb3a8, v81
	v_fmac_f16_e32 v19, 0xb3a8, v6
	v_add_f16_e32 v35, v50, v35
	v_add_f16_e32 v17, v24, v17
	;; [unrolled: 1-line block ×3, first 2 shown]
	v_fmamk_f16 v24, v13, 0xbbc4, v23
	v_fmac_f16_e32 v78, 0xb94e, v6
	v_add_f16_e32 v31, v36, v35
	v_add_f16_e32 v17, v54, v17
	;; [unrolled: 1-line block ×3, first 2 shown]
	v_fma_f16 v30, v8, 0xbbc4, -v67
	v_add_f16_e32 v19, v21, v19
	v_add_f16_e32 v24, v24, v31
	;; [unrolled: 1-line block ×3, first 2 shown]
	v_fmac_f16_e32 v18, 0x3770, v1
	v_add_f16_e32 v25, v0, v30
	v_fma_f16 v30, v11, 0x3b15, -v70
	v_add_f16_e32 v31, v21, v78
	v_fmac_f16_e32 v80, 0x3bf1, v1
	v_add_f16_e32 v18, v18, v19
	v_fmac_f16_e32 v57, 0xb94e, v7
	v_add_f16_e32 v19, v30, v25
	v_fma_f16 v25, v12, 0xb9fd, -v72
	v_add_f16_e32 v30, v80, v31
	v_fmac_f16_e32 v79, 0xba95, v7
	v_add_f16_e32 v18, v57, v18
	;; [unrolled: 6-line block ×3, first 2 shown]
	v_fmac_f16_e32 v88, 0x3770, v5
	v_add_f16_e32 v19, v25, v19
	v_fma_f16 v25, v10, 0xb5ac, -v77
	v_add_f16_e32 v26, v84, v30
	v_fmac_f16_e32 v92, 0xbb7b, v6
	v_fma_f16 v30, v11, 0x2fb7, -v87
	v_fmac_f16_e32 v95, 0x394e, v1
	v_add_f16_e32 v19, v25, v19
	v_add_f16_e32 v25, v88, v26
	v_fma_f16 v26, v8, 0xb9fd, -v83
	v_add_f16_e32 v31, v21, v92
	v_fmac_f16_e32 v96, 0x3770, v7
	v_mul_f16_e32 v32, 0xb9fd, v63
	v_fmac_f16_e32 v98, 0xbbf1, v4
	v_add_f16_e32 v26, v0, v26
	v_add_f16_e32 v31, v95, v31
	v_fmac_f16_e32 v22, 0xbb7b, v5
	v_fmamk_f16 v62, v5, 0x394e, v32
	v_fmac_f16_e32 v102, 0x33a8, v5
	v_add_f16_e32 v26, v30, v26
	v_fma_f16 v30, v12, 0x388b, -v90
	v_add_f16_e32 v31, v96, v31
	v_add_f16_e32 v34, v62, v52
	v_mul_f16_e32 v52, 0xbbc4, v69
	v_add_f16_e32 v18, v22, v18
	v_add_f16_e32 v26, v30, v26
	v_fma_f16 v30, v9, 0xbbc4, -v89
	v_add_f16_e32 v31, v98, v31
	v_fma_f16 v22, v13, 0x2fb7, -v82
	v_fmac_f16_e32 v91, 0xbb7b, v2
	v_mul_f16_e32 v119, 0xb9fd, v69
	v_add_f16_e32 v26, v30, v26
	v_fma_f16 v30, v10, 0x3b15, -v86
	v_add_f16_e32 v31, v102, v31
	v_fmac_f16_e32 v94, 0x3a95, v2
	v_fmamk_f16 v50, v2, 0x33a8, v52
	v_add_f16_e32 v19, v22, v19
	v_add_f16_e32 v26, v30, v26
	v_fma_f16 v30, v13, 0xb5ac, -v85
	v_add_f16_e32 v22, v91, v25
	v_fma_f16 v25, v8, 0xb5ac, -v97
	v_fmamk_f16 v123, v2, 0x394e, v119
	v_fmac_f16_e32 v108, 0xba95, v6
	v_add_f16_e32 v26, v30, v26
	v_add_f16_e32 v30, v94, v31
	v_fma_f16 v31, v8, 0x2fb7, -v111
	v_add_f16_e32 v29, v50, v34
	v_add_f16_e32 v25, v0, v25
	v_fma_f16 v34, v11, 0xb9fd, -v101
	v_add_f16_e32 v107, v123, v107
	v_fmamk_f16 v123, v7, 0x33a8, v125
	v_add_f16_e32 v31, v0, v31
	v_fma_f16 v36, v11, 0xbbc4, -v115
	v_add_f16_e32 v50, v21, v108
	v_fmac_f16_e32 v122, 0xbb7b, v1
	v_add_f16_e32 v25, v34, v25
	v_fma_f16 v34, v12, 0x3b15, -v104
	v_add_f16_e32 v121, v123, v121
	v_fmamk_f16 v123, v4, 0xb94e, v124
	v_mul_f16_e32 v129, 0x2fb7, v63
	v_add_f16_e32 v31, v36, v31
	v_fma_f16 v36, v12, 0xb5ac, -v118
	v_add_f16_e32 v50, v122, v50
	v_fmac_f16_e32 v125, 0xb3a8, v7
	v_add_f16_e32 v25, v34, v25
	v_fma_f16 v34, v9, 0x2fb7, -v103
	v_add_f16_e32 v121, v123, v121
	v_fmamk_f16 v123, v5, 0xbbf1, v129
	v_add_f16_e32 v31, v36, v31
	v_fma_f16 v36, v9, 0x3b15, -v117
	v_add_f16_e32 v50, v125, v50
	v_fmac_f16_e32 v124, 0x394e, v4
	v_add_f16_e32 v25, v34, v25
	v_fma_f16 v34, v10, 0xbbc4, -v106
	v_add_f16_e32 v121, v123, v121
	v_mul_f16_e32 v123, 0x3b15, v69
	v_add_f16_e32 v31, v36, v31
	v_fma_f16 v36, v10, 0x388b, -v120
	v_add_f16_e32 v50, v124, v50
	v_fmac_f16_e32 v129, 0x3bf1, v5
	v_add_f16_e32 v25, v34, v25
	v_fma_f16 v34, v13, 0x388b, -v100
	v_fmac_f16_e32 v105, 0xbbf1, v6
	v_fmamk_f16 v136, v2, 0xb770, v123
	v_add_f16_e32 v31, v36, v31
	v_fma_f16 v36, v13, 0xb9fd, -v126
	v_add_f16_e32 v50, v129, v50
	v_fmac_f16_e32 v123, 0x3770, v2
	v_fma_f16 v54, v8, 0x388b, -v114
	v_fmac_f16_e32 v56, 0xb770, v6
	v_fma_f16 v8, v8, 0x3b15, -v64
	v_add_f16_e32 v25, v34, v25
	v_add_f16_e32 v34, v21, v105
	v_fmac_f16_e32 v109, 0xb3a8, v1
	v_add_f16_e32 v31, v36, v31
	v_add_f16_e32 v6, v123, v50
	v_add_f16_e32 v36, v0, v54
	v_fma_f16 v50, v11, 0xb5ac, -v128
	v_add_f16_e32 v21, v21, v56
	v_fmac_f16_e32 v28, 0xba95, v1
	v_add_f16_e32 v0, v0, v8
	v_fma_f16 v1, v11, 0x388b, -v51
	v_add_f16_e32 v34, v109, v34
	v_fmac_f16_e32 v110, 0x3b7b, v7
	v_add_f16_e32 v8, v50, v36
	;; [unrolled: 4-line block ×3, first 2 shown]
	v_fma_f16 v1, v12, 0x2fb7, -v55
	v_mul_f16_e32 v135, 0x3770, v81
	v_add_f16_e32 v34, v110, v34
	v_fmac_f16_e32 v112, 0x3770, v4
	v_add_f16_e32 v7, v11, v8
	v_fma_f16 v8, v9, 0xb9fd, -v133
	v_add_f16_e32 v11, v59, v21
	v_fmac_f16_e32 v60, 0xbb7b, v4
	v_add_f16_e32 v0, v1, v0
	v_fma_f16 v1, v9, 0xb5ac, -v53
	v_fmamk_f16 v58, v13, 0x3b15, v135
	v_add_f16_e32 v34, v112, v34
	v_fmac_f16_e32 v116, 0xba95, v5
	v_add_f16_e32 v4, v8, v7
	v_fma_f16 v7, v10, 0x2fb7, -v134
	v_add_f16_e32 v8, v60, v11
	v_fmac_f16_e32 v32, 0xb94e, v5
	v_add_f16_e32 v0, v1, v0
	v_fma_f16 v1, v10, 0xb9fd, -v33
	v_add_f16_e32 v121, v136, v121
	v_add_f16_e32 v35, v58, v127
	v_fmac_f16_e32 v75, 0x3bf1, v2
	v_add_f16_e32 v34, v116, v34
	v_fmac_f16_e32 v119, 0xb94e, v2
	v_add_f16_e32 v4, v7, v4
	v_fma_f16 v5, v13, 0x3b15, -v135
	v_add_f16_e32 v7, v32, v8
	v_fmac_f16_e32 v52, 0xb3a8, v2
	v_add_f16_e32 v0, v1, v0
	v_fma_f16 v1, v13, 0xbbc4, -v23
	v_pack_b32_f16 v2, v27, v17
	v_lshl_add_u32 v8, v45, 2, v49
	v_pack_b32_f16 v9, v24, v29
	v_pack_b32_f16 v10, v35, v121
	v_add_f16_e32 v18, v75, v18
	v_add_f16_e32 v34, v119, v34
	;; [unrolled: 1-line block ×5, first 2 shown]
	ds_write_b32 v42, v2
	ds_write2_b32 v8, v9, v10 offset0:50 offset1:100
	v_pack_b32_f16 v1, v113, v107
	v_pack_b32_f16 v2, v99, v93
	;; [unrolled: 1-line block ×4, first 2 shown]
	v_add_nc_u32_e32 v9, 0x200, v8
	v_pack_b32_f16 v10, v19, v18
	v_pack_b32_f16 v11, v26, v22
	v_add_nc_u32_e32 v12, 0x400, v8
	v_pack_b32_f16 v13, v25, v30
	v_pack_b32_f16 v14, v31, v34
	;; [unrolled: 1-line block ×4, first 2 shown]
	v_add_nc_u32_e32 v5, 0x800, v8
	ds_write2_b32 v8, v1, v2 offset0:150 offset1:200
	ds_write2_b32 v9, v7, v3 offset0:122 offset1:172
	;; [unrolled: 1-line block ×5, first 2 shown]
.LBB0_9:
	s_or_b32 exec_lo, exec_lo, s0
	s_waitcnt lgkmcnt(0)
	s_barrier
	buffer_gl0_inv
	ds_read2_b32 v[0:1], v42 offset1:65
	s_mov_b32 s6, 0x7f9b2ce6
	s_mov_b32 s7, 0x3f5934c6
	v_mad_u64_u32 v[12:13], null, s8, v45, 0
	s_mul_i32 s3, s8, 0x104
	s_waitcnt lgkmcnt(0)
	v_lshrrev_b32_e32 v2, 16, v0
	v_mul_f16_sdwa v3, v48, v0 dst_sel:DWORD dst_unused:UNUSED_PAD src0_sel:WORD_1 src1_sel:DWORD
	v_lshrrev_b32_e32 v4, 16, v1
	v_mul_f16_sdwa v5, v47, v1 dst_sel:DWORD dst_unused:UNUSED_PAD src0_sel:WORD_1 src1_sel:DWORD
	v_mul_f16_sdwa v6, v48, v2 dst_sel:DWORD dst_unused:UNUSED_PAD src0_sel:WORD_1 src1_sel:DWORD
	v_fma_f16 v3, v48, v2, -v3
	v_mul_f16_sdwa v8, v47, v4 dst_sel:DWORD dst_unused:UNUSED_PAD src0_sel:WORD_1 src1_sel:DWORD
	v_fma_f16 v2, v47, v4, -v5
	ds_read2_b32 v[4:5], v42 offset0:130 offset1:195
	v_fmac_f16_e32 v6, v48, v0
	v_cvt_f32_f16_e32 v3, v3
	v_fmac_f16_e32 v8, v47, v1
	v_cvt_f32_f16_e32 v0, v2
	v_cvt_f32_f16_e32 v9, v6
	v_cvt_f64_f32_e32 v[2:3], v3
	v_cvt_f32_f16_e32 v10, v8
	v_cvt_f64_f32_e32 v[6:7], v0
	v_cvt_f64_f32_e32 v[0:1], v9
	v_mad_u64_u32 v[8:9], null, s10, v20, 0
	v_cvt_f64_f32_e32 v[10:11], v10
	s_waitcnt lgkmcnt(0)
	v_lshrrev_b32_e32 v17, 16, v4
	v_mul_f16_sdwa v19, v46, v4 dst_sel:DWORD dst_unused:UNUSED_PAD src0_sel:WORD_1 src1_sel:DWORD
	v_mul_f16_sdwa v18, v46, v17 dst_sel:DWORD dst_unused:UNUSED_PAD src0_sel:WORD_1 src1_sel:DWORD
	v_mul_f64 v[2:3], v[2:3], s[6:7]
	v_fmac_f16_e32 v18, v46, v4
	v_mul_f64 v[6:7], v[6:7], s[6:7]
	v_fma_f16 v4, v46, v17, -v19
	v_mul_f64 v[0:1], v[0:1], s[6:7]
	v_mad_u64_u32 v[14:15], null, s11, v20, v[9:10]
	v_mul_f64 v[10:11], v[10:11], s[6:7]
	v_cvt_f32_f16_e32 v4, v4
	v_mad_u64_u32 v[15:16], null, s9, v45, v[13:14]
	v_mov_b32_e32 v9, v14
	v_cvt_f32_f16_e32 v14, v18
	v_and_or_b32 v2, 0x1ff, v3, v2
	v_lshrrev_b32_e32 v16, 8, v3
	v_and_or_b32 v6, 0x1ff, v7, v6
	v_bfe_u32 v17, v3, 20, 11
	v_and_or_b32 v0, 0x1ff, v1, v0
	v_cmp_ne_u32_e32 vcc_lo, 0, v2
	v_lshrrev_b32_e32 v20, 8, v1
	v_bfe_u32 v21, v1, 20, 11
	v_bfe_u32 v19, v7, 20, 11
	v_and_or_b32 v10, 0x1ff, v11, v10
	v_cndmask_b32_e64 v2, 0, 1, vcc_lo
	v_cmp_ne_u32_e32 vcc_lo, 0, v6
	v_lshrrev_b32_e32 v23, 8, v11
	v_sub_nc_u32_e32 v26, 0x3f1, v21
	v_lshrrev_b32_e32 v18, 8, v7
	v_sub_nc_u32_e32 v22, 0x3f1, v17
	v_cndmask_b32_e64 v6, 0, 1, vcc_lo
	v_cmp_ne_u32_e32 vcc_lo, 0, v0
	v_bfe_u32 v24, v11, 20, 11
	v_sub_nc_u32_e32 v25, 0x3f1, v19
	v_and_or_b32 v2, 0xffe, v16, v2
	v_add_nc_u32_e32 v17, 0xfffffc10, v17
	v_cndmask_b32_e64 v0, 0, 1, vcc_lo
	v_cmp_ne_u32_e32 vcc_lo, 0, v10
	v_med3_i32 v16, v22, 0, 13
	v_sub_nc_u32_e32 v22, 0x3f1, v24
	v_and_or_b32 v6, 0xffe, v18, v6
	v_and_or_b32 v0, 0xffe, v20, v0
	v_cndmask_b32_e64 v10, 0, 1, vcc_lo
	v_med3_i32 v20, v26, 0, 13
	v_med3_i32 v18, v25, 0, 13
	v_or_b32_e32 v25, 0x1000, v2
	v_cmp_ne_u32_e32 vcc_lo, 0, v2
	v_and_or_b32 v10, 0xffe, v23, v10
	v_or_b32_e32 v23, 0x1000, v0
	v_add_nc_u32_e32 v21, 0xfffffc10, v21
	v_lshl_or_b32 v26, v17, 12, v2
	v_cndmask_b32_e64 v2, 0, 1, vcc_lo
	v_med3_i32 v22, v22, 0, 13
	v_lshrrev_b32_e32 v30, v20, v23
	v_cmp_ne_u32_e32 vcc_lo, 0, v0
	v_lshrrev_b32_e32 v31, v16, v25
	v_or_b32_e32 v32, 0x1000, v10
	v_lshl_or_b32 v29, v21, 12, v0
	v_lshlrev_b32_e32 v20, v20, v30
	v_cndmask_b32_e64 v0, 0, 1, vcc_lo
	v_lshlrev_b32_e32 v16, v16, v31
	v_lshrrev_b32_e32 v35, v22, v32
	v_or_b32_e32 v27, 0x1000, v6
	v_cmp_ne_u32_e32 vcc_lo, v20, v23
	v_add_nc_u32_e32 v24, 0xfffffc10, v24
	v_lshl_or_b32 v0, v0, 9, 0x7c00
	v_lshlrev_b32_e32 v22, v22, v35
	v_lshrrev_b32_e32 v34, v18, v27
	v_cndmask_b32_e64 v20, 0, 1, vcc_lo
	v_cmp_ne_u32_e32 vcc_lo, v16, v25
	v_lshl_or_b32 v33, v24, 12, v10
	v_mov_b32_e32 v13, v15
	v_lshlrev_b32_e32 v18, v18, v34
	v_or_b32_e32 v20, v30, v20
	v_cndmask_b32_e64 v16, 0, 1, vcc_lo
	v_cmp_ne_u32_e32 vcc_lo, v22, v32
	v_cvt_f64_f32_e32 v[14:15], v14
	v_lshrrev_b32_e32 v1, 16, v1
	v_lshl_or_b32 v2, v2, 9, 0x7c00
	v_or_b32_e32 v16, v31, v16
	v_cndmask_b32_e64 v22, 0, 1, vcc_lo
	v_cmp_gt_i32_e32 vcc_lo, 1, v21
	v_lshrrev_b32_e32 v3, 16, v3
	v_add_nc_u32_e32 v19, 0xfffffc10, v19
	v_lshlrev_b64 v[8:9], 2, v[8:9]
	v_or_b32_e32 v22, v35, v22
	v_cndmask_b32_e32 v20, v29, v20, vcc_lo
	v_cmp_gt_i32_e32 vcc_lo, 1, v17
	v_lshl_or_b32 v28, v19, 12, v6
	v_lshrrev_b32_e32 v11, 16, v11
	v_and_b32_e32 v23, 7, v20
	v_cndmask_b32_e32 v16, v26, v16, vcc_lo
	v_cmp_ne_u32_e32 vcc_lo, v18, v27
	v_lshrrev_b32_e32 v20, 2, v20
	v_cmp_eq_u32_e64 s0, 3, v23
	v_and_b32_e32 v25, 7, v16
	v_cndmask_b32_e64 v18, 0, 1, vcc_lo
	v_cmp_gt_i32_e32 vcc_lo, 1, v24
	v_lshrrev_b32_e32 v16, 2, v16
	v_cmp_lt_i32_e64 s1, 5, v25
	v_cmp_eq_u32_e64 s2, 3, v25
	v_cndmask_b32_e32 v22, v33, v22, vcc_lo
	v_cmp_lt_i32_e32 vcc_lo, 5, v23
	v_and_b32_e32 v23, 7, v22
	s_or_b32 vcc_lo, s0, vcc_lo
	v_cmp_gt_i32_e64 s0, 31, v17
	v_add_co_ci_u32_e32 v20, vcc_lo, 0, v20, vcc_lo
	s_or_b32 vcc_lo, s2, s1
	v_cmp_eq_u32_e64 s1, 0x40f, v17
	v_add_co_ci_u32_e32 v16, vcc_lo, 0, v16, vcc_lo
	v_cmp_gt_i32_e32 vcc_lo, 31, v21
	s_mul_hi_u32 s2, s8, 0x104
	v_cndmask_b32_e64 v16, 0x7c00, v16, s0
	v_cmp_eq_u32_e64 s0, 0x40f, v21
	v_cndmask_b32_e32 v20, 0x7c00, v20, vcc_lo
	v_cmp_lt_i32_e32 vcc_lo, 5, v23
	v_cndmask_b32_e64 v2, v16, v2, s1
	v_cndmask_b32_e64 v0, v20, v0, s0
	v_cmp_eq_u32_e64 s0, 3, v23
	v_lshrrev_b32_e32 v20, 2, v22
	v_and_or_b32 v2, 0x8000, v3, v2
	v_and_or_b32 v0, 0x8000, v1, v0
	s_or_b32 vcc_lo, s0, vcc_lo
	v_add_co_ci_u32_e32 v1, vcc_lo, 0, v20, vcc_lo
	v_cmp_ne_u32_e32 vcc_lo, 0, v10
	v_and_b32_e32 v0, 0xffff, v0
	v_or_b32_e32 v10, v34, v18
	v_cndmask_b32_e64 v3, 0, 1, vcc_lo
	v_cmp_gt_i32_e32 vcc_lo, 31, v24
	v_lshl_or_b32 v17, v2, 16, v0
	v_cndmask_b32_e32 v16, 0x7c00, v1, vcc_lo
	v_mul_f64 v[0:1], v[14:15], s[6:7]
	v_lshl_or_b32 v14, v3, 9, 0x7c00
	v_cvt_f64_f32_e32 v[2:3], v4
	v_cmp_gt_i32_e32 vcc_lo, 1, v19
	v_cndmask_b32_e32 v10, v28, v10, vcc_lo
	v_add_co_u32 v4, vcc_lo, s4, v8
	v_add_co_ci_u32_e32 v15, vcc_lo, s5, v9, vcc_lo
	v_and_b32_e32 v18, 7, v10
	v_cmp_eq_u32_e32 vcc_lo, 0x40f, v24
	v_lshlrev_b64 v[8:9], 2, v[12:13]
	v_cmp_eq_u32_e64 s0, 3, v18
	v_cndmask_b32_e32 v12, v16, v14, vcc_lo
	v_cmp_lt_i32_e32 vcc_lo, 5, v18
	v_add_co_u32 v8, s1, v4, v8
	v_lshrrev_b32_e32 v4, 2, v10
	v_and_or_b32 v0, 0x1ff, v1, v0
	s_or_b32 vcc_lo, s0, vcc_lo
	v_mul_f64 v[2:3], v[2:3], s[6:7]
	v_and_or_b32 v10, 0x8000, v11, v12
	v_add_co_ci_u32_e32 v4, vcc_lo, 0, v4, vcc_lo
	v_cmp_ne_u32_e32 vcc_lo, 0, v0
	v_lshrrev_b32_e32 v11, 16, v5
	v_lshrrev_b32_e32 v12, 8, v1
	v_bfe_u32 v13, v1, 20, 11
	v_add_co_ci_u32_e64 v9, s1, v15, v9, s1
	v_cndmask_b32_e64 v0, 0, 1, vcc_lo
	v_mul_f16_sdwa v14, v44, v11 dst_sel:DWORD dst_unused:UNUSED_PAD src0_sel:WORD_1 src1_sel:DWORD
	v_cmp_ne_u32_e32 vcc_lo, 0, v6
	v_lshrrev_b32_e32 v16, 16, v7
	v_and_b32_e32 v10, 0xffff, v10
	v_and_or_b32 v0, 0xffe, v12, v0
	v_sub_nc_u32_e32 v12, 0x3f1, v13
	v_cndmask_b32_e64 v6, 0, 1, vcc_lo
	v_fmac_f16_e32 v14, v44, v5
	v_cmp_gt_i32_e32 vcc_lo, 31, v19
	v_or_b32_e32 v15, 0x1000, v0
	v_med3_i32 v12, v12, 0, 13
	v_lshl_or_b32 v6, v6, 9, 0x7c00
	v_cvt_f32_f16_e32 v14, v14
	v_cndmask_b32_e32 v4, 0x7c00, v4, vcc_lo
	v_cmp_eq_u32_e32 vcc_lo, 0x40f, v19
	v_lshrrev_b32_e32 v18, v12, v15
	v_and_or_b32 v2, 0x1ff, v3, v2
	v_add_nc_u32_e32 v13, 0xfffffc10, v13
	global_store_dword v[8:9], v17, off
	v_cndmask_b32_e32 v4, v4, v6, vcc_lo
	v_cvt_f64_f32_e32 v[6:7], v14
	v_lshlrev_b32_e32 v12, v12, v18
	v_cmp_ne_u32_e32 vcc_lo, 0, v2
	v_lshrrev_b32_e32 v14, 8, v3
	v_and_or_b32 v4, 0x8000, v16, v4
	v_bfe_u32 v16, v3, 20, 11
	v_mul_f16_sdwa v5, v44, v5 dst_sel:DWORD dst_unused:UNUSED_PAD src0_sel:WORD_1 src1_sel:DWORD
	v_cndmask_b32_e64 v2, 0, 1, vcc_lo
	v_cmp_ne_u32_e32 vcc_lo, v12, v15
	v_lshl_or_b32 v15, v4, 16, v10
	v_sub_nc_u32_e32 v4, 0x3f1, v16
	s_mul_i32 s0, s9, 0x104
	v_and_or_b32 v2, 0xffe, v14, v2
	v_cndmask_b32_e64 v12, 0, 1, vcc_lo
	v_cmp_gt_i32_e32 vcc_lo, 1, v13
	v_med3_i32 v4, v4, 0, 13
	s_add_i32 s2, s2, s0
	v_or_b32_e32 v14, 0x1000, v2
	v_or_b32_e32 v10, v18, v12
	v_lshl_or_b32 v12, v13, 12, v0
	v_fma_f16 v5, v44, v11, -v5
	v_lshrrev_b32_e32 v1, 16, v1
	v_mul_f64 v[6:7], v[6:7], s[6:7]
	v_cndmask_b32_e32 v10, v12, v10, vcc_lo
	v_lshrrev_b32_e32 v12, v4, v14
	v_cvt_f32_f16_e32 v5, v5
	v_and_b32_e32 v17, 7, v10
	v_lshlrev_b32_e32 v4, v4, v12
	v_lshrrev_b32_e32 v10, 2, v10
	v_cmp_lt_i32_e32 vcc_lo, 5, v17
	v_cmp_eq_u32_e64 s0, 3, v17
	v_cmp_ne_u32_e64 s1, v4, v14
	v_add_nc_u32_e32 v14, 0xfffffc10, v16
	v_cvt_f64_f32_e32 v[4:5], v5
	s_or_b32 vcc_lo, s0, vcc_lo
	v_cndmask_b32_e64 v11, 0, 1, s1
	v_add_co_ci_u32_e32 v16, vcc_lo, 0, v10, vcc_lo
	v_cmp_ne_u32_e32 vcc_lo, 0, v0
	v_and_or_b32 v6, 0x1ff, v7, v6
	v_or_b32_e32 v10, v12, v11
	v_lshl_or_b32 v11, v14, 12, v2
	v_add_nc_u32_e32 v12, 0x400, v42
	v_cndmask_b32_e64 v0, 0, 1, vcc_lo
	v_cmp_gt_i32_e32 vcc_lo, 1, v14
	v_lshrrev_b32_e32 v18, 8, v7
	v_bfe_u32 v19, v7, 20, 11
	v_lshl_or_b32 v0, v0, 9, 0x7c00
	v_cndmask_b32_e32 v17, v11, v10, vcc_lo
	v_cmp_ne_u32_e32 vcc_lo, 0, v6
	ds_read2_b32 v[10:11], v12 offset0:4 offset1:69
	v_and_b32_e32 v20, 7, v17
	v_cndmask_b32_e64 v6, 0, 1, vcc_lo
	v_cmp_gt_i32_e32 vcc_lo, 31, v13
	v_mul_f64 v[4:5], v[4:5], s[6:7]
	v_cmp_eq_u32_e64 s0, 3, v20
	v_and_or_b32 v6, 0xffe, v18, v6
	v_cndmask_b32_e32 v16, 0x7c00, v16, vcc_lo
	v_cmp_eq_u32_e32 vcc_lo, 0x40f, v13
	v_sub_nc_u32_e32 v18, 0x3f1, v19
	v_or_b32_e32 v13, 0x1000, v6
	v_cndmask_b32_e32 v0, v16, v0, vcc_lo
	v_cmp_lt_i32_e32 vcc_lo, 5, v20
	v_med3_i32 v16, v18, 0, 13
	v_and_or_b32 v18, 0x8000, v1, v0
	v_lshrrev_b32_e32 v0, 2, v17
	s_or_b32 vcc_lo, s0, vcc_lo
	v_lshrrev_b32_e32 v20, v16, v13
	s_waitcnt lgkmcnt(0)
	v_lshrrev_b32_e32 v17, 16, v10
	v_add_co_ci_u32_e32 v0, vcc_lo, 0, v0, vcc_lo
	v_cmp_ne_u32_e32 vcc_lo, 0, v2
	v_lshlrev_b32_e32 v16, v16, v20
	v_mul_f16_sdwa v1, v43, v17 dst_sel:DWORD dst_unused:UNUSED_PAD src0_sel:WORD_1 src1_sel:DWORD
	v_bfe_u32 v22, v5, 20, 11
	v_cndmask_b32_e64 v2, 0, 1, vcc_lo
	v_cmp_gt_i32_e32 vcc_lo, 31, v14
	v_fmac_f16_e32 v1, v43, v10
	v_mul_f16_sdwa v10, v43, v10 dst_sel:DWORD dst_unused:UNUSED_PAD src0_sel:WORD_1 src1_sel:DWORD
	v_lshl_or_b32 v2, v2, 9, 0x7c00
	v_cndmask_b32_e32 v21, 0x7c00, v0, vcc_lo
	v_and_or_b32 v0, 0x1ff, v5, v4
	v_cmp_ne_u32_e32 vcc_lo, v16, v13
	v_cvt_f32_f16_e32 v1, v1
	v_add_nc_u32_e32 v13, 0xfffffc10, v19
	v_lshrrev_b32_e32 v19, 8, v5
	v_cndmask_b32_e64 v4, 0, 1, vcc_lo
	v_cmp_ne_u32_e32 vcc_lo, 0, v0
	v_cvt_f64_f32_e32 v[0:1], v1
	v_cndmask_b32_e64 v16, 0, 1, vcc_lo
	v_cmp_eq_u32_e32 vcc_lo, 0x40f, v14
	v_and_or_b32 v16, 0xffe, v19, v16
	v_sub_nc_u32_e32 v19, 0x3f1, v22
	v_cndmask_b32_e32 v14, v21, v2, vcc_lo
	v_or_b32_e32 v2, v20, v4
	v_lshl_or_b32 v4, v13, 12, v6
	v_cmp_gt_i32_e32 vcc_lo, 1, v13
	v_or_b32_e32 v21, 0x1000, v16
	v_med3_i32 v19, v19, 0, 13
	v_lshrrev_b32_e32 v20, 16, v3
	v_cndmask_b32_e32 v4, v4, v2, vcc_lo
	v_add_co_u32 v2, vcc_lo, v8, s3
	v_add_co_ci_u32_e32 v3, vcc_lo, s2, v9, vcc_lo
	v_lshrrev_b32_e32 v9, v19, v21
	v_and_or_b32 v8, 0x8000, v20, v14
	v_and_b32_e32 v14, 0xffff, v18
	v_and_b32_e32 v18, 7, v4
	v_mul_f64 v[0:1], v[0:1], s[6:7]
	v_lshlrev_b32_e32 v19, v19, v9
	v_lshrrev_b32_e32 v4, 2, v4
	v_lshl_or_b32 v14, v8, 16, v14
	v_fma_f16 v8, v43, v17, -v10
	v_cmp_lt_i32_e32 vcc_lo, 5, v18
	v_cmp_ne_u32_e64 s0, v19, v21
	global_store_dword v[2:3], v15, off
	v_add_nc_u32_e32 v15, 0xfffffc10, v22
	v_cvt_f32_f16_e32 v8, v8
	v_cndmask_b32_e64 v10, 0, 1, s0
	v_cmp_eq_u32_e64 s0, 3, v18
	v_lshl_or_b32 v17, v15, 12, v16
	v_or_b32_e32 v10, v9, v10
	s_or_b32 vcc_lo, s0, vcc_lo
	v_cvt_f64_f32_e32 v[8:9], v8
	v_add_co_ci_u32_e32 v4, vcc_lo, 0, v4, vcc_lo
	v_cmp_ne_u32_e32 vcc_lo, 0, v6
	v_and_or_b32 v0, 0x1ff, v1, v0
	v_lshrrev_b32_e32 v18, 8, v1
	v_bfe_u32 v19, v1, 20, 11
	v_cndmask_b32_e64 v6, 0, 1, vcc_lo
	v_cmp_gt_i32_e32 vcc_lo, 1, v15
	v_lshl_or_b32 v6, v6, 9, 0x7c00
	v_cndmask_b32_e32 v10, v17, v10, vcc_lo
	v_cmp_gt_i32_e32 vcc_lo, 31, v13
	v_and_b32_e32 v17, 7, v10
	v_cndmask_b32_e32 v4, 0x7c00, v4, vcc_lo
	v_cmp_ne_u32_e32 vcc_lo, 0, v0
	v_cmp_eq_u32_e64 s0, 3, v17
	v_cndmask_b32_e64 v0, 0, 1, vcc_lo
	v_cmp_eq_u32_e32 vcc_lo, 0x40f, v13
	v_lshrrev_b32_e32 v13, 16, v7
	v_and_or_b32 v0, 0xffe, v18, v0
	v_cndmask_b32_e32 v4, v4, v6, vcc_lo
	v_cmp_lt_i32_e32 vcc_lo, 5, v17
	v_mul_f64 v[6:7], v[8:9], s[6:7]
	v_lshrrev_b32_e32 v8, 2, v10
	v_sub_nc_u32_e32 v18, 0x3f1, v19
	v_or_b32_e32 v9, 0x1000, v0
	s_or_b32 vcc_lo, s0, vcc_lo
	v_lshrrev_b32_e32 v17, 16, v11
	v_add_co_ci_u32_e32 v8, vcc_lo, 0, v8, vcc_lo
	v_med3_i32 v10, v18, 0, 13
	v_cmp_ne_u32_e32 vcc_lo, 0, v16
	v_mul_f16_sdwa v20, v41, v17 dst_sel:DWORD dst_unused:UNUSED_PAD src0_sel:WORD_1 src1_sel:DWORD
	v_and_or_b32 v13, 0x8000, v13, v4
	v_lshrrev_b32_e32 v18, v10, v9
	v_cndmask_b32_e64 v16, 0, 1, vcc_lo
	v_cmp_gt_i32_e32 vcc_lo, 31, v15
	v_fmac_f16_e32 v20, v41, v11
	v_and_b32_e32 v13, 0xffff, v13
	v_lshlrev_b32_e32 v4, v10, v18
	v_lshl_or_b32 v16, v16, 9, 0x7c00
	v_cndmask_b32_e32 v8, 0x7c00, v8, vcc_lo
	v_cmp_eq_u32_e32 vcc_lo, 0x40f, v15
	v_and_or_b32 v6, 0x1ff, v7, v6
	v_lshrrev_b32_e32 v10, 16, v5
	v_cvt_f32_f16_e32 v5, v20
	v_add_nc_u32_e32 v15, 0xfffffc10, v19
	v_cndmask_b32_e32 v8, v8, v16, vcc_lo
	v_cmp_ne_u32_e32 vcc_lo, v4, v9
	v_lshrrev_b32_e32 v16, 8, v7
	v_cvt_f64_f32_e32 v[4:5], v5
	v_bfe_u32 v19, v7, 20, 11
	v_and_or_b32 v8, 0x8000, v10, v8
	v_cndmask_b32_e64 v9, 0, 1, vcc_lo
	v_cmp_ne_u32_e32 vcc_lo, 0, v6
	v_lshl_or_b32 v10, v15, 12, v0
	v_mul_f16_sdwa v11, v41, v11 dst_sel:DWORD dst_unused:UNUSED_PAD src0_sel:WORD_1 src1_sel:DWORD
	v_lshl_or_b32 v20, v8, 16, v13
	v_or_b32_e32 v9, v18, v9
	v_cndmask_b32_e64 v6, 0, 1, vcc_lo
	v_cmp_gt_i32_e32 vcc_lo, 1, v15
	v_fma_f16 v11, v41, v17, -v11
	v_and_or_b32 v6, 0xffe, v16, v6
	v_sub_nc_u32_e32 v16, 0x3f1, v19
	v_cndmask_b32_e32 v10, v10, v9, vcc_lo
	v_add_co_u32 v2, vcc_lo, v2, s3
	v_or_b32_e32 v18, 0x1000, v6
	v_med3_i32 v16, v16, 0, 13
	v_add_co_ci_u32_e32 v3, vcc_lo, s2, v3, vcc_lo
	v_and_b32_e32 v13, 7, v10
	v_mul_f64 v[4:5], v[4:5], s[6:7]
	v_lshrrev_b32_e32 v21, v16, v18
	v_add_co_u32 v8, vcc_lo, v2, s3
	v_add_co_ci_u32_e32 v9, vcc_lo, s2, v3, vcc_lo
	v_lshlrev_b32_e32 v16, v16, v21
	v_cmp_lt_i32_e32 vcc_lo, 5, v13
	v_cmp_eq_u32_e64 s0, 3, v13
	v_lshrrev_b32_e32 v10, 2, v10
	v_cvt_f32_f16_e32 v11, v11
	v_cmp_ne_u32_e64 s1, v16, v18
	v_add_nc_u32_e32 v16, 0xfffffc10, v19
	s_or_b32 vcc_lo, s0, vcc_lo
	v_add_co_ci_u32_e32 v17, vcc_lo, 0, v10, vcc_lo
	v_cndmask_b32_e64 v13, 0, 1, s1
	v_cmp_ne_u32_e32 vcc_lo, 0, v0
	v_cvt_f64_f32_e32 v[10:11], v11
	v_lshl_or_b32 v19, v16, 12, v6
	v_or_b32_e32 v18, v21, v13
	v_cndmask_b32_e64 v0, 0, 1, vcc_lo
	v_cmp_gt_i32_e32 vcc_lo, 1, v16
	v_and_or_b32 v4, 0x1ff, v5, v4
	ds_read2_b32 v[12:13], v12 offset0:134 offset1:199
	v_lshrrev_b32_e32 v21, 8, v5
	v_lshl_or_b32 v0, v0, 9, 0x7c00
	v_cndmask_b32_e32 v18, v19, v18, vcc_lo
	v_cmp_gt_i32_e32 vcc_lo, 31, v15
	v_bfe_u32 v22, v5, 20, 11
	global_store_dword v[2:3], v14, off
	global_store_dword v[8:9], v20, off
	v_lshrrev_b32_e32 v5, 16, v5
	v_and_b32_e32 v19, 7, v18
	v_cndmask_b32_e32 v17, 0x7c00, v17, vcc_lo
	v_cmp_ne_u32_e32 vcc_lo, 0, v4
	v_cmp_eq_u32_e64 s0, 3, v19
	v_cndmask_b32_e64 v4, 0, 1, vcc_lo
	v_cmp_eq_u32_e32 vcc_lo, 0x40f, v15
	v_and_or_b32 v4, 0xffe, v21, v4
	v_cndmask_b32_e32 v15, v17, v0, vcc_lo
	v_cmp_lt_i32_e32 vcc_lo, 5, v19
	v_lshrrev_b32_e32 v17, 16, v1
	v_mul_f64 v[0:1], v[10:11], s[6:7]
	v_lshrrev_b32_e32 v11, 2, v18
	v_sub_nc_u32_e32 v21, 0x3f1, v22
	s_or_b32 vcc_lo, s0, vcc_lo
	v_or_b32_e32 v18, 0x1000, v4
	s_waitcnt lgkmcnt(0)
	v_lshrrev_b32_e32 v10, 16, v12
	v_add_co_ci_u32_e32 v11, vcc_lo, 0, v11, vcc_lo
	v_med3_i32 v19, v21, 0, 13
	v_cmp_ne_u32_e32 vcc_lo, 0, v6
	v_mul_f16_sdwa v21, v40, v10 dst_sel:DWORD dst_unused:UNUSED_PAD src0_sel:WORD_1 src1_sel:DWORD
	v_and_or_b32 v15, 0x8000, v17, v15
	v_lshrrev_b32_e32 v23, v19, v18
	v_cndmask_b32_e64 v6, 0, 1, vcc_lo
	v_cmp_gt_i32_e32 vcc_lo, 31, v16
	v_fmac_f16_e32 v21, v40, v12
	v_and_b32_e32 v15, 0xffff, v15
	v_lshlrev_b32_e32 v17, v19, v23
	v_lshl_or_b32 v6, v6, 9, 0x7c00
	v_cndmask_b32_e32 v11, 0x7c00, v11, vcc_lo
	v_cmp_eq_u32_e32 vcc_lo, 0x40f, v16
	v_and_or_b32 v0, 0x1ff, v1, v0
	v_cvt_f32_f16_e32 v19, v21
	v_lshrrev_b32_e32 v16, 16, v7
	v_bfe_u32 v21, v1, 20, 11
	v_cndmask_b32_e32 v11, v11, v6, vcc_lo
	v_cmp_ne_u32_e32 vcc_lo, v17, v18
	v_cvt_f64_f32_e32 v[6:7], v19
	v_add_nc_u32_e32 v18, 0xfffffc10, v22
	v_lshrrev_b32_e32 v19, 8, v1
	v_and_or_b32 v11, 0x8000, v16, v11
	v_cndmask_b32_e64 v17, 0, 1, vcc_lo
	v_cmp_ne_u32_e32 vcc_lo, 0, v0
	v_lshl_or_b32 v11, v11, 16, v15
	v_or_b32_e32 v16, v23, v17
	v_cndmask_b32_e64 v0, 0, 1, vcc_lo
	v_lshl_or_b32 v17, v18, 12, v4
	v_cmp_gt_i32_e32 vcc_lo, 1, v18
	v_and_or_b32 v0, 0xffe, v19, v0
	v_sub_nc_u32_e32 v19, 0x3f1, v21
	v_cndmask_b32_e32 v16, v17, v16, vcc_lo
	v_or_b32_e32 v17, 0x1000, v0
	v_med3_i32 v19, v19, 0, 13
	v_and_b32_e32 v14, 7, v16
	v_mul_f64 v[2:3], v[6:7], s[6:7]
	v_add_co_u32 v6, vcc_lo, v8, s3
	v_lshrrev_b32_e32 v15, v19, v17
	v_add_co_ci_u32_e32 v7, vcc_lo, s2, v9, vcc_lo
	v_cmp_lt_i32_e32 vcc_lo, 5, v14
	v_cmp_eq_u32_e64 s0, 3, v14
	v_lshlrev_b32_e32 v8, v19, v15
	v_mul_f16_sdwa v9, v40, v12 dst_sel:DWORD dst_unused:UNUSED_PAD src0_sel:WORD_1 src1_sel:DWORD
	v_lshrrev_b32_e32 v12, 2, v16
	global_store_dword v[6:7], v11, off
	s_or_b32 vcc_lo, s0, vcc_lo
	v_cmp_ne_u32_e64 s1, v8, v17
	v_fma_f16 v9, v40, v10, -v9
	v_add_co_ci_u32_e32 v12, vcc_lo, 0, v12, vcc_lo
	v_add_nc_u32_e32 v10, 0xfffffc10, v21
	v_cndmask_b32_e64 v8, 0, 1, s1
	v_cmp_ne_u32_e32 vcc_lo, 0, v4
	v_cvt_f32_f16_e32 v9, v9
	v_and_or_b32 v2, 0x1ff, v3, v2
	v_or_b32_e32 v14, v15, v8
	v_lshl_or_b32 v15, v10, 12, v0
	v_cndmask_b32_e64 v4, 0, 1, vcc_lo
	v_cmp_gt_i32_e32 vcc_lo, 1, v10
	v_cvt_f64_f32_e32 v[8:9], v9
	v_lshrrev_b32_e32 v16, 8, v3
	v_bfe_u32 v17, v3, 20, 11
	v_lshl_or_b32 v4, v4, 9, 0x7c00
	v_cndmask_b32_e32 v14, v15, v14, vcc_lo
	v_cmp_gt_i32_e32 vcc_lo, 31, v18
	v_lshrrev_b32_e32 v3, 16, v3
	v_and_b32_e32 v15, 7, v14
	v_cndmask_b32_e32 v12, 0x7c00, v12, vcc_lo
	v_cmp_ne_u32_e32 vcc_lo, 0, v2
	v_lshrrev_b32_e32 v14, 2, v14
	v_cmp_eq_u32_e64 s0, 3, v15
	v_cndmask_b32_e64 v2, 0, 1, vcc_lo
	v_cmp_eq_u32_e32 vcc_lo, 0x40f, v18
	v_and_or_b32 v2, 0xffe, v16, v2
	v_cndmask_b32_e32 v4, v12, v4, vcc_lo
	v_cmp_lt_i32_e32 vcc_lo, 5, v15
	v_lshrrev_b32_e32 v15, 16, v13
	v_mul_f64 v[8:9], v[8:9], s[6:7]
	v_sub_nc_u32_e32 v12, 0x3f1, v17
	v_or_b32_e32 v16, 0x1000, v2
	s_or_b32 vcc_lo, s0, vcc_lo
	v_mul_f16_sdwa v18, v39, v15 dst_sel:DWORD dst_unused:UNUSED_PAD src0_sel:WORD_1 src1_sel:DWORD
	v_add_co_ci_u32_e32 v14, vcc_lo, 0, v14, vcc_lo
	v_cmp_ne_u32_e32 vcc_lo, 0, v0
	v_med3_i32 v12, v12, 0, 13
	v_fmac_f16_e32 v18, v39, v13
	v_and_or_b32 v4, 0x8000, v5, v4
	v_mul_f16_sdwa v13, v39, v13 dst_sel:DWORD dst_unused:UNUSED_PAD src0_sel:WORD_1 src1_sel:DWORD
	v_cndmask_b32_e64 v0, 0, 1, vcc_lo
	v_cmp_gt_i32_e32 vcc_lo, 31, v10
	v_lshrrev_b32_e32 v19, v12, v16
	v_cvt_f32_f16_e32 v18, v18
	v_and_b32_e32 v4, 0xffff, v4
	v_lshl_or_b32 v0, v0, 9, 0x7c00
	v_cndmask_b32_e32 v14, 0x7c00, v14, vcc_lo
	v_cmp_eq_u32_e32 vcc_lo, 0x40f, v10
	v_lshlrev_b32_e32 v12, v12, v19
	v_and_or_b32 v8, 0x1ff, v9, v8
	v_cndmask_b32_e32 v10, v14, v0, vcc_lo
	v_lshrrev_b32_e32 v14, 16, v1
	v_cvt_f64_f32_e32 v[0:1], v18
	v_cmp_ne_u32_e32 vcc_lo, v12, v16
	v_add_nc_u32_e32 v16, 0xfffffc10, v17
	v_bfe_u32 v17, v9, 20, 11
	v_and_or_b32 v5, 0x8000, v14, v10
	v_lshrrev_b32_e32 v14, 8, v9
	v_cndmask_b32_e64 v12, 0, 1, vcc_lo
	v_cmp_ne_u32_e32 vcc_lo, 0, v8
	v_lshrrev_b32_e32 v9, 16, v9
	v_or_b32_e32 v10, v19, v12
	v_lshl_or_b32 v12, v16, 12, v2
	v_cndmask_b32_e64 v8, 0, 1, vcc_lo
	v_cmp_gt_i32_e32 vcc_lo, 1, v16
	v_and_or_b32 v8, 0xffe, v14, v8
	v_cndmask_b32_e32 v10, v12, v10, vcc_lo
	v_sub_nc_u32_e32 v12, 0x3f1, v17
	v_lshl_or_b32 v14, v5, 16, v4
	v_mul_f64 v[0:1], v[0:1], s[6:7]
	v_or_b32_e32 v18, 0x1000, v8
	v_and_b32_e32 v11, 7, v10
	v_med3_i32 v12, v12, 0, 13
	v_add_co_u32 v4, vcc_lo, v6, s3
	v_add_co_ci_u32_e32 v5, vcc_lo, s2, v7, vcc_lo
	v_lshrrev_b32_e32 v19, v12, v18
	v_cmp_lt_i32_e32 vcc_lo, 5, v11
	v_cmp_eq_u32_e64 s0, 3, v11
	v_lshrrev_b32_e32 v7, 2, v10
	v_fma_f16 v6, v39, v15, -v13
	v_lshlrev_b32_e32 v10, v12, v19
	v_add_nc_u32_e32 v11, 0x800, v42
	s_or_b32 vcc_lo, s0, vcc_lo
	v_add_co_ci_u32_e32 v13, vcc_lo, 0, v7, vcc_lo
	v_cmp_ne_u32_e32 vcc_lo, v10, v18
	v_cvt_f32_f16_e32 v12, v6
	ds_read2_b32 v[6:7], v11 offset0:8 offset1:73
	v_and_or_b32 v0, 0x1ff, v1, v0
	v_lshrrev_b32_e32 v18, 8, v1
	v_cndmask_b32_e64 v15, 0, 1, vcc_lo
	v_cmp_gt_i32_e32 vcc_lo, 31, v16
	v_cvt_f64_f32_e32 v[10:11], v12
	v_add_nc_u32_e32 v12, 0xfffffc10, v17
	v_or_b32_e32 v15, v19, v15
	v_cndmask_b32_e32 v13, 0x7c00, v13, vcc_lo
	v_cmp_ne_u32_e32 vcc_lo, 0, v0
	v_lshl_or_b32 v17, v12, 12, v8
	v_bfe_u32 v19, v1, 20, 11
	v_cndmask_b32_e64 v0, 0, 1, vcc_lo
	v_cmp_ne_u32_e32 vcc_lo, 0, v2
	v_and_or_b32 v0, 0xffe, v18, v0
	v_cndmask_b32_e64 v2, 0, 1, vcc_lo
	v_cmp_gt_i32_e32 vcc_lo, 1, v12
	s_waitcnt lgkmcnt(0)
	v_lshrrev_b32_e32 v18, 16, v6
	v_or_b32_e32 v21, 0x1000, v0
	v_lshl_or_b32 v2, v2, 9, 0x7c00
	v_cndmask_b32_e32 v15, v17, v15, vcc_lo
	v_sub_nc_u32_e32 v17, 0x3f1, v19
	v_cmp_eq_u32_e32 vcc_lo, 0x40f, v16
	v_mul_f64 v[10:11], v[10:11], s[6:7]
	v_mul_f16_sdwa v22, v38, v18 dst_sel:DWORD dst_unused:UNUSED_PAD src0_sel:WORD_1 src1_sel:DWORD
	v_and_b32_e32 v20, 7, v15
	v_med3_i32 v17, v17, 0, 13
	v_cndmask_b32_e32 v2, v13, v2, vcc_lo
	v_add_nc_u32_e32 v19, 0xfffffc10, v19
	v_fmac_f16_e32 v22, v38, v6
	v_cmp_lt_i32_e32 vcc_lo, 5, v20
	v_lshrrev_b32_e32 v13, v17, v21
	v_cmp_eq_u32_e64 s0, 3, v20
	v_and_or_b32 v16, 0x8000, v3, v2
	v_lshrrev_b32_e32 v2, 2, v15
	v_cvt_f32_f16_e32 v15, v22
	v_lshlrev_b32_e32 v3, v17, v13
	s_or_b32 vcc_lo, s0, vcc_lo
	v_mul_f16_sdwa v6, v38, v6 dst_sel:DWORD dst_unused:UNUSED_PAD src0_sel:WORD_1 src1_sel:DWORD
	v_add_co_ci_u32_e32 v17, vcc_lo, 0, v2, vcc_lo
	v_cmp_ne_u32_e32 vcc_lo, v3, v21
	v_cvt_f64_f32_e32 v[2:3], v15
	v_lshl_or_b32 v15, v19, 12, v0
	v_fma_f16 v6, v38, v18, -v6
	v_and_or_b32 v10, 0x1ff, v11, v10
	v_cndmask_b32_e64 v20, 0, 1, vcc_lo
	v_cmp_ne_u32_e32 vcc_lo, 0, v8
	v_cvt_f32_f16_e32 v6, v6
	v_or_b32_e32 v13, v13, v20
	v_cndmask_b32_e64 v8, 0, 1, vcc_lo
	v_cmp_gt_i32_e32 vcc_lo, 31, v12
	v_bfe_u32 v20, v11, 20, 11
	v_lshl_or_b32 v8, v8, 9, 0x7c00
	v_cndmask_b32_e32 v17, 0x7c00, v17, vcc_lo
	v_cmp_gt_i32_e32 vcc_lo, 1, v19
	v_cndmask_b32_e32 v13, v15, v13, vcc_lo
	v_cmp_ne_u32_e32 vcc_lo, 0, v10
	v_lshrrev_b32_e32 v15, 8, v11
	v_mul_f64 v[2:3], v[2:3], s[6:7]
	v_and_b32_e32 v21, 7, v13
	v_cndmask_b32_e64 v10, 0, 1, vcc_lo
	v_cmp_eq_u32_e32 vcc_lo, 0x40f, v12
	v_sub_nc_u32_e32 v12, 0x3f1, v20
	v_cmp_eq_u32_e64 s0, 3, v21
	v_and_or_b32 v10, 0xffe, v15, v10
	v_cndmask_b32_e32 v8, v17, v8, vcc_lo
	v_cmp_lt_i32_e32 vcc_lo, 5, v21
	v_med3_i32 v12, v12, 0, 13
	v_or_b32_e32 v15, 0x1000, v10
	v_and_or_b32 v8, 0x8000, v9, v8
	v_lshrrev_b32_e32 v9, 2, v13
	s_or_b32 vcc_lo, s0, vcc_lo
	v_and_b32_e32 v13, 0xffff, v16
	v_lshrrev_b32_e32 v16, v12, v15
	v_add_co_ci_u32_e32 v9, vcc_lo, 0, v9, vcc_lo
	v_cmp_ne_u32_e32 vcc_lo, 0, v0
	v_lshl_or_b32 v17, v8, 16, v13
	v_lshlrev_b32_e32 v8, v12, v16
	v_and_or_b32 v2, 0x1ff, v3, v2
	v_bfe_u32 v18, v3, 20, 11
	v_cndmask_b32_e64 v0, 0, 1, vcc_lo
	v_cmp_gt_i32_e32 vcc_lo, 31, v19
	v_lshl_or_b32 v0, v0, 9, 0x7c00
	v_cndmask_b32_e32 v9, 0x7c00, v9, vcc_lo
	v_cmp_ne_u32_e32 vcc_lo, v8, v15
	v_add_nc_u32_e32 v15, 0xfffffc10, v20
	v_cndmask_b32_e64 v8, 0, 1, vcc_lo
	v_cmp_eq_u32_e32 vcc_lo, 0x40f, v19
	v_lshl_or_b32 v13, v15, 12, v10
	v_cndmask_b32_e32 v12, v9, v0, vcc_lo
	v_cmp_ne_u32_e32 vcc_lo, 0, v2
	v_or_b32_e32 v0, v16, v8
	v_lshrrev_b32_e32 v16, 8, v3
	v_cvt_f64_f32_e32 v[8:9], v6
	v_lshrrev_b32_e32 v3, 16, v3
	v_cndmask_b32_e64 v2, 0, 1, vcc_lo
	v_cmp_gt_i32_e32 vcc_lo, 1, v15
	v_and_or_b32 v2, 0xffe, v16, v2
	v_cndmask_b32_e32 v6, v13, v0, vcc_lo
	v_sub_nc_u32_e32 v0, 0x3f1, v18
	v_lshrrev_b32_e32 v16, 16, v7
	v_lshrrev_b32_e32 v13, 16, v1
	v_or_b32_e32 v20, 0x1000, v2
	v_and_b32_e32 v19, 7, v6
	v_med3_i32 v21, v0, 0, 13
	v_mul_f16_sdwa v22, v37, v16 dst_sel:DWORD dst_unused:UNUSED_PAD src0_sel:WORD_1 src1_sel:DWORD
	v_add_co_u32 v0, vcc_lo, v4, s3
	v_add_co_ci_u32_e32 v1, vcc_lo, s2, v5, vcc_lo
	v_lshrrev_b32_e32 v24, v21, v20
	v_cmp_lt_i32_e32 vcc_lo, 5, v19
	v_cmp_eq_u32_e64 s0, 3, v19
	v_fmac_f16_e32 v22, v37, v7
	v_lshrrev_b32_e32 v6, 2, v6
	v_lshlrev_b32_e32 v19, v21, v24
	v_and_or_b32 v23, 0x8000, v13, v12
	s_or_b32 vcc_lo, s0, vcc_lo
	v_cvt_f32_f16_e32 v12, v22
	v_add_co_ci_u32_e32 v6, vcc_lo, 0, v6, vcc_lo
	v_mul_f64 v[8:9], v[8:9], s[6:7]
	v_cmp_ne_u32_e32 vcc_lo, v19, v20
	v_cvt_f64_f32_e32 v[12:13], v12
	v_add_nc_u32_e32 v18, 0xfffffc10, v18
	v_mul_f16_sdwa v7, v37, v7 dst_sel:DWORD dst_unused:UNUSED_PAD src0_sel:WORD_1 src1_sel:DWORD
	v_cndmask_b32_e64 v19, 0, 1, vcc_lo
	v_cmp_ne_u32_e32 vcc_lo, 0, v10
	v_lshl_or_b32 v20, v18, 12, v2
	v_fma_f16 v7, v37, v16, -v7
	v_or_b32_e32 v19, v24, v19
	v_cndmask_b32_e64 v10, 0, 1, vcc_lo
	v_cmp_gt_i32_e32 vcc_lo, 31, v15
	v_cvt_f32_f16_e32 v7, v7
	v_lshl_or_b32 v10, v10, 9, 0x7c00
	v_cndmask_b32_e32 v6, 0x7c00, v6, vcc_lo
	v_cmp_gt_i32_e32 vcc_lo, 1, v18
	v_and_or_b32 v8, 0x1ff, v9, v8
	v_cndmask_b32_e32 v16, v20, v19, vcc_lo
	v_cmp_eq_u32_e32 vcc_lo, 0x40f, v15
	v_lshrrev_b32_e32 v19, 16, v11
	v_and_b32_e32 v20, 7, v16
	v_cndmask_b32_e32 v15, v6, v10, vcc_lo
	v_mul_f64 v[10:11], v[12:13], s[6:7]
	v_cvt_f64_f32_e32 v[6:7], v7
	v_cmp_ne_u32_e32 vcc_lo, 0, v8
	v_lshrrev_b32_e32 v12, 8, v9
	v_bfe_u32 v13, v9, 20, 11
	v_cmp_eq_u32_e64 s0, 3, v20
	v_lshrrev_b32_e32 v16, 2, v16
	v_cndmask_b32_e64 v8, 0, 1, vcc_lo
	v_cmp_lt_i32_e32 vcc_lo, 5, v20
	v_and_or_b32 v15, 0x8000, v19, v15
	v_and_b32_e32 v19, 0xffff, v23
	v_lshrrev_b32_e32 v9, 16, v9
	v_and_or_b32 v8, 0xffe, v12, v8
	v_sub_nc_u32_e32 v12, 0x3f1, v13
	s_or_b32 vcc_lo, s0, vcc_lo
	v_lshl_or_b32 v15, v15, 16, v19
	v_add_co_ci_u32_e32 v16, vcc_lo, 0, v16, vcc_lo
	v_or_b32_e32 v19, 0x1000, v8
	v_med3_i32 v12, v12, 0, 13
	v_cmp_ne_u32_e32 vcc_lo, 0, v2
	v_add_nc_u32_e32 v13, 0xfffffc10, v13
	v_and_or_b32 v10, 0x1ff, v11, v10
	v_mul_f64 v[6:7], v[6:7], s[6:7]
	v_lshrrev_b32_e32 v20, v12, v19
	v_cndmask_b32_e64 v2, 0, 1, vcc_lo
	v_cmp_gt_i32_e32 vcc_lo, 31, v18
	v_lshrrev_b32_e32 v21, 8, v11
	v_bfe_u32 v22, v11, 20, 11
	v_lshlrev_b32_e32 v12, v12, v20
	v_lshl_or_b32 v2, v2, 9, 0x7c00
	v_cndmask_b32_e32 v16, 0x7c00, v16, vcc_lo
	v_cmp_ne_u32_e32 vcc_lo, 0, v10
	v_lshrrev_b32_e32 v11, 16, v11
	v_cndmask_b32_e64 v10, 0, 1, vcc_lo
	v_cmp_ne_u32_e32 vcc_lo, v12, v19
	v_sub_nc_u32_e32 v19, 0x3f1, v22
	v_and_or_b32 v10, 0xffe, v21, v10
	v_cndmask_b32_e64 v12, 0, 1, vcc_lo
	v_cmp_eq_u32_e32 vcc_lo, 0x40f, v18
	v_med3_i32 v19, v19, 0, 13
	v_and_or_b32 v6, 0x1ff, v7, v6
	v_or_b32_e32 v18, 0x1000, v10
	v_or_b32_e32 v12, v20, v12
	v_cndmask_b32_e32 v2, v16, v2, vcc_lo
	v_lshl_or_b32 v16, v13, 12, v8
	v_cmp_gt_i32_e32 vcc_lo, 1, v13
	v_lshrrev_b32_e32 v20, 8, v7
	v_bfe_u32 v21, v7, 20, 11
	v_and_or_b32 v2, 0x8000, v3, v2
	v_lshrrev_b32_e32 v7, 16, v7
	v_cndmask_b32_e32 v12, v16, v12, vcc_lo
	v_lshrrev_b32_e32 v16, v19, v18
	v_cmp_ne_u32_e32 vcc_lo, 0, v6
	v_and_b32_e32 v23, 7, v12
	v_lshlrev_b32_e32 v19, v19, v16
	v_cndmask_b32_e64 v6, 0, 1, vcc_lo
	v_lshrrev_b32_e32 v12, 2, v12
	v_cmp_lt_i32_e32 vcc_lo, 5, v23
	v_cmp_ne_u32_e64 s0, v19, v18
	v_and_or_b32 v3, 0xffe, v20, v6
	v_sub_nc_u32_e32 v6, 0x3f1, v21
	v_add_nc_u32_e32 v20, 0xfffffc10, v22
	v_cndmask_b32_e64 v18, 0, 1, s0
	v_cmp_eq_u32_e64 s0, 3, v23
	v_or_b32_e32 v19, 0x1000, v3
	v_med3_i32 v6, v6, 0, 13
	v_lshl_or_b32 v22, v20, 12, v10
	v_or_b32_e32 v16, v16, v18
	s_or_b32 vcc_lo, s0, vcc_lo
	v_add_co_ci_u32_e32 v12, vcc_lo, 0, v12, vcc_lo
	v_lshrrev_b32_e32 v18, v6, v19
	v_cmp_gt_i32_e32 vcc_lo, 1, v20
	v_lshlrev_b32_e32 v6, v6, v18
	v_cndmask_b32_e32 v16, v22, v16, vcc_lo
	v_cmp_ne_u32_e32 vcc_lo, 0, v8
	v_cndmask_b32_e64 v8, 0, 1, vcc_lo
	v_cmp_ne_u32_e32 vcc_lo, v6, v19
	v_add_nc_u32_e32 v19, 0xfffffc10, v21
	v_and_b32_e32 v21, 7, v16
	v_lshl_or_b32 v8, v8, 9, 0x7c00
	v_cndmask_b32_e64 v6, 0, 1, vcc_lo
	v_cmp_gt_i32_e32 vcc_lo, 31, v13
	v_cmp_gt_i32_e64 s1, 1, v19
	v_cmp_eq_u32_e64 s0, 3, v21
	v_or_b32_e32 v6, v18, v6
	v_lshl_or_b32 v18, v19, 12, v3
	v_cndmask_b32_e32 v12, 0x7c00, v12, vcc_lo
	v_cmp_lt_i32_e32 vcc_lo, 5, v21
	v_cndmask_b32_e64 v6, v18, v6, s1
	v_cmp_eq_u32_e64 s1, 0x40f, v13
	s_or_b32 vcc_lo, s0, vcc_lo
	v_and_b32_e32 v13, 7, v6
	v_cndmask_b32_e64 v8, v12, v8, s1
	v_lshrrev_b32_e32 v12, 2, v16
	v_lshrrev_b32_e32 v6, 2, v6
	v_cmp_gt_i32_e64 s1, 31, v20
	v_cmp_eq_u32_e64 s0, 3, v13
	v_and_or_b32 v8, 0x8000, v9, v8
	v_add_co_ci_u32_e32 v12, vcc_lo, 0, v12, vcc_lo
	v_cmp_ne_u32_e32 vcc_lo, 0, v10
	v_and_b32_e32 v9, 0xffff, v2
	v_cndmask_b32_e64 v12, 0x7c00, v12, s1
	v_cndmask_b32_e64 v10, 0, 1, vcc_lo
	v_cmp_lt_i32_e32 vcc_lo, 5, v13
	v_lshl_or_b32 v10, v10, 9, 0x7c00
	s_or_b32 vcc_lo, s0, vcc_lo
	v_add_co_ci_u32_e32 v6, vcc_lo, 0, v6, vcc_lo
	v_cmp_ne_u32_e32 vcc_lo, 0, v3
	v_cndmask_b32_e64 v3, 0, 1, vcc_lo
	v_cmp_eq_u32_e32 vcc_lo, 0x40f, v20
	v_lshl_or_b32 v3, v3, 9, 0x7c00
	v_cndmask_b32_e32 v10, v12, v10, vcc_lo
	v_cmp_gt_i32_e32 vcc_lo, 31, v19
	v_and_or_b32 v10, 0x8000, v11, v10
	v_cndmask_b32_e32 v6, 0x7c00, v6, vcc_lo
	v_cmp_eq_u32_e32 vcc_lo, 0x40f, v19
	v_lshl_or_b32 v11, v8, 16, v9
	v_and_b32_e32 v9, 0xffff, v10
	v_cndmask_b32_e32 v6, v6, v3, vcc_lo
	v_add_co_u32 v2, vcc_lo, v0, s3
	v_add_co_ci_u32_e32 v3, vcc_lo, s2, v1, vcc_lo
	v_and_or_b32 v8, 0x8000, v7, v6
	v_add_co_u32 v6, vcc_lo, v2, s3
	v_add_co_ci_u32_e32 v7, vcc_lo, s2, v3, vcc_lo
	v_lshl_or_b32 v10, v8, 16, v9
	v_add_co_u32 v8, vcc_lo, v6, s3
	v_add_co_ci_u32_e32 v9, vcc_lo, s2, v7, vcc_lo
	global_store_dword v[4:5], v14, off
	global_store_dword v[0:1], v17, off
	global_store_dword v[2:3], v15, off
	global_store_dword v[6:7], v11, off
	global_store_dword v[8:9], v10, off
.LBB0_10:
	s_endpgm
	.section	.rodata,"a",@progbits
	.p2align	6, 0x0
	.amdhsa_kernel bluestein_single_fwd_len650_dim1_half_op_CI_CI
		.amdhsa_group_segment_fixed_size 7800
		.amdhsa_private_segment_fixed_size 0
		.amdhsa_kernarg_size 104
		.amdhsa_user_sgpr_count 6
		.amdhsa_user_sgpr_private_segment_buffer 1
		.amdhsa_user_sgpr_dispatch_ptr 0
		.amdhsa_user_sgpr_queue_ptr 0
		.amdhsa_user_sgpr_kernarg_segment_ptr 1
		.amdhsa_user_sgpr_dispatch_id 0
		.amdhsa_user_sgpr_flat_scratch_init 0
		.amdhsa_user_sgpr_private_segment_size 0
		.amdhsa_wavefront_size32 1
		.amdhsa_uses_dynamic_stack 0
		.amdhsa_system_sgpr_private_segment_wavefront_offset 0
		.amdhsa_system_sgpr_workgroup_id_x 1
		.amdhsa_system_sgpr_workgroup_id_y 0
		.amdhsa_system_sgpr_workgroup_id_z 0
		.amdhsa_system_sgpr_workgroup_info 0
		.amdhsa_system_vgpr_workitem_id 0
		.amdhsa_next_free_vgpr 177
		.amdhsa_next_free_sgpr 20
		.amdhsa_reserve_vcc 1
		.amdhsa_reserve_flat_scratch 0
		.amdhsa_float_round_mode_32 0
		.amdhsa_float_round_mode_16_64 0
		.amdhsa_float_denorm_mode_32 3
		.amdhsa_float_denorm_mode_16_64 3
		.amdhsa_dx10_clamp 1
		.amdhsa_ieee_mode 1
		.amdhsa_fp16_overflow 0
		.amdhsa_workgroup_processor_mode 1
		.amdhsa_memory_ordered 1
		.amdhsa_forward_progress 0
		.amdhsa_shared_vgpr_count 0
		.amdhsa_exception_fp_ieee_invalid_op 0
		.amdhsa_exception_fp_denorm_src 0
		.amdhsa_exception_fp_ieee_div_zero 0
		.amdhsa_exception_fp_ieee_overflow 0
		.amdhsa_exception_fp_ieee_underflow 0
		.amdhsa_exception_fp_ieee_inexact 0
		.amdhsa_exception_int_div_zero 0
	.end_amdhsa_kernel
	.text
.Lfunc_end0:
	.size	bluestein_single_fwd_len650_dim1_half_op_CI_CI, .Lfunc_end0-bluestein_single_fwd_len650_dim1_half_op_CI_CI
                                        ; -- End function
	.section	.AMDGPU.csdata,"",@progbits
; Kernel info:
; codeLenInByte = 19036
; NumSgprs: 22
; NumVgprs: 177
; ScratchSize: 0
; MemoryBound: 0
; FloatMode: 240
; IeeeMode: 1
; LDSByteSize: 7800 bytes/workgroup (compile time only)
; SGPRBlocks: 2
; VGPRBlocks: 22
; NumSGPRsForWavesPerEU: 22
; NumVGPRsForWavesPerEU: 177
; Occupancy: 5
; WaveLimiterHint : 1
; COMPUTE_PGM_RSRC2:SCRATCH_EN: 0
; COMPUTE_PGM_RSRC2:USER_SGPR: 6
; COMPUTE_PGM_RSRC2:TRAP_HANDLER: 0
; COMPUTE_PGM_RSRC2:TGID_X_EN: 1
; COMPUTE_PGM_RSRC2:TGID_Y_EN: 0
; COMPUTE_PGM_RSRC2:TGID_Z_EN: 0
; COMPUTE_PGM_RSRC2:TIDIG_COMP_CNT: 0
	.text
	.p2alignl 6, 3214868480
	.fill 48, 4, 3214868480
	.type	__hip_cuid_14c0b908cfc79440,@object ; @__hip_cuid_14c0b908cfc79440
	.section	.bss,"aw",@nobits
	.globl	__hip_cuid_14c0b908cfc79440
__hip_cuid_14c0b908cfc79440:
	.byte	0                               ; 0x0
	.size	__hip_cuid_14c0b908cfc79440, 1

	.ident	"AMD clang version 19.0.0git (https://github.com/RadeonOpenCompute/llvm-project roc-6.4.0 25133 c7fe45cf4b819c5991fe208aaa96edf142730f1d)"
	.section	".note.GNU-stack","",@progbits
	.addrsig
	.addrsig_sym __hip_cuid_14c0b908cfc79440
	.amdgpu_metadata
---
amdhsa.kernels:
  - .args:
      - .actual_access:  read_only
        .address_space:  global
        .offset:         0
        .size:           8
        .value_kind:     global_buffer
      - .actual_access:  read_only
        .address_space:  global
        .offset:         8
        .size:           8
        .value_kind:     global_buffer
      - .actual_access:  read_only
        .address_space:  global
        .offset:         16
        .size:           8
        .value_kind:     global_buffer
      - .actual_access:  read_only
        .address_space:  global
        .offset:         24
        .size:           8
        .value_kind:     global_buffer
      - .actual_access:  read_only
        .address_space:  global
        .offset:         32
        .size:           8
        .value_kind:     global_buffer
      - .offset:         40
        .size:           8
        .value_kind:     by_value
      - .address_space:  global
        .offset:         48
        .size:           8
        .value_kind:     global_buffer
      - .address_space:  global
        .offset:         56
        .size:           8
        .value_kind:     global_buffer
      - .address_space:  global
        .offset:         64
        .size:           8
        .value_kind:     global_buffer
      - .address_space:  global
        .offset:         72
        .size:           8
        .value_kind:     global_buffer
      - .offset:         80
        .size:           4
        .value_kind:     by_value
      - .address_space:  global
        .offset:         88
        .size:           8
        .value_kind:     global_buffer
      - .address_space:  global
        .offset:         96
        .size:           8
        .value_kind:     global_buffer
    .group_segment_fixed_size: 7800
    .kernarg_segment_align: 8
    .kernarg_segment_size: 104
    .language:       OpenCL C
    .language_version:
      - 2
      - 0
    .max_flat_workgroup_size: 195
    .name:           bluestein_single_fwd_len650_dim1_half_op_CI_CI
    .private_segment_fixed_size: 0
    .sgpr_count:     22
    .sgpr_spill_count: 0
    .symbol:         bluestein_single_fwd_len650_dim1_half_op_CI_CI.kd
    .uniform_work_group_size: 1
    .uses_dynamic_stack: false
    .vgpr_count:     177
    .vgpr_spill_count: 0
    .wavefront_size: 32
    .workgroup_processor_mode: 1
amdhsa.target:   amdgcn-amd-amdhsa--gfx1030
amdhsa.version:
  - 1
  - 2
...

	.end_amdgpu_metadata
